;; amdgpu-corpus repo=ROCm/rocFFT kind=compiled arch=gfx1030 opt=O3
	.text
	.amdgcn_target "amdgcn-amd-amdhsa--gfx1030"
	.amdhsa_code_object_version 6
	.protected	bluestein_single_fwd_len450_dim1_dp_op_CI_CI ; -- Begin function bluestein_single_fwd_len450_dim1_dp_op_CI_CI
	.globl	bluestein_single_fwd_len450_dim1_dp_op_CI_CI
	.p2align	8
	.type	bluestein_single_fwd_len450_dim1_dp_op_CI_CI,@function
bluestein_single_fwd_len450_dim1_dp_op_CI_CI: ; @bluestein_single_fwd_len450_dim1_dp_op_CI_CI
; %bb.0:
	s_load_dwordx4 s[12:15], s[4:5], 0x28
	v_mul_u32_u24_e32 v1, 0x889, v0
	s_mov_b64 s[26:27], s[2:3]
	s_mov_b64 s[24:25], s[0:1]
	v_mov_b32_e32 v7, 0
	s_add_u32 s24, s24, s7
	v_lshrrev_b32_e32 v1, 16, v1
	s_addc_u32 s25, s25, 0
	s_mov_b32 s0, exec_lo
	v_lshl_add_u32 v6, s6, 2, v1
	s_waitcnt lgkmcnt(0)
	v_cmpx_gt_u64_e64 s[12:13], v[6:7]
	s_cbranch_execz .LBB0_15
; %bb.1:
	s_clause 0x1
	s_load_dwordx4 s[8:11], s[4:5], 0x18
	s_load_dwordx2 s[6:7], s[4:5], 0x0
	v_mul_lo_u16 v2, v1, 30
	v_and_b32_e32 v34, 3, v1
	v_sub_nc_u16 v32, v0, v2
	v_mul_u32_u24_e32 v34, 0x1c2, v34
	v_and_b32_e32 v254, 0xffff, v32
	v_lshlrev_b32_e32 v252, 4, v34
	v_lshlrev_b32_e32 v33, 4, v254
	s_waitcnt lgkmcnt(0)
	s_load_dwordx4 s[0:3], s[8:9], 0x0
	s_clause 0x2
	global_load_dwordx4 v[94:97], v33, s[6:7]
	global_load_dwordx4 v[98:101], v33, s[6:7] offset:720
	global_load_dwordx4 v[90:93], v33, s[6:7] offset:1440
	v_add_nc_u32_e32 v255, v252, v33
	s_waitcnt lgkmcnt(0)
	v_mad_u64_u32 v[2:3], null, s2, v6, 0
	v_mad_u64_u32 v[4:5], null, s0, v254, 0
	v_add_co_u32 v248, s2, s6, v33
	v_add_co_ci_u32_e64 v249, null, s7, 0, s2
	v_mov_b32_e32 v0, v3
	v_add_co_u32 v8, vcc_lo, 0x800, v248
	v_mov_b32_e32 v3, v5
	v_mov_b32_e32 v5, v6
	buffer_store_dword v5, off, s[24:27], 0 offset:40 ; 4-byte Folded Spill
	buffer_store_dword v6, off, s[24:27], 0 offset:44 ; 4-byte Folded Spill
	v_add_co_ci_u32_e32 v9, vcc_lo, 0, v249, vcc_lo
	s_clause 0x1
	global_load_dwordx4 v[36:39], v[8:9], off offset:112
	global_load_dwordx4 v[122:125], v[8:9], off offset:832
	buffer_store_dword v8, off, s[24:27], 0 ; 4-byte Folded Spill
	buffer_store_dword v9, off, s[24:27], 0 offset:4 ; 4-byte Folded Spill
	v_add_co_u32 v10, vcc_lo, 0x1000, v248
	v_add_co_ci_u32_e32 v11, vcc_lo, 0, v249, vcc_lo
	v_add_co_u32 v12, vcc_lo, 0x1800, v248
	v_add_co_ci_u32_e32 v13, vcc_lo, 0, v249, vcc_lo
	s_mul_hi_u32 s8, s0, 45
	s_mul_i32 s2, s0, 45
	s_clause 0x1
	global_load_dwordx4 v[118:121], v[8:9], off offset:1552
	global_load_dwordx4 v[102:105], v[10:11], off offset:224
	v_mad_u64_u32 v[5:6], null, s3, v6, v[0:1]
	v_mad_u64_u32 v[6:7], null, s1, v254, v[3:4]
	s_mul_i32 s3, s1, 45
	s_add_i32 s3, s8, s3
	v_mov_b32_e32 v3, v5
	s_lshl_b64 s[12:13], s[2:3], 4
	v_mov_b32_e32 v5, v6
	s_load_dwordx2 s[2:3], s[4:5], 0x38
	v_lshlrev_b64 v[2:3], 4, v[2:3]
	v_lshlrev_b64 v[4:5], 4, v[4:5]
	v_add_co_u32 v0, vcc_lo, s14, v2
	v_add_co_ci_u32_e32 v3, vcc_lo, s15, v3, vcc_lo
	v_add_co_u32 v2, vcc_lo, v0, v4
	v_add_co_ci_u32_e32 v3, vcc_lo, v3, v5, vcc_lo
	;; [unrolled: 2-line block ×3, first 2 shown]
	s_clause 0x1
	global_load_dwordx4 v[42:45], v[2:3], off
	global_load_dwordx4 v[46:49], v[4:5], off
	v_add_co_u32 v6, vcc_lo, v4, s12
	v_add_co_ci_u32_e32 v7, vcc_lo, s13, v5, vcc_lo
	v_add_co_u32 v8, vcc_lo, v6, s12
	v_add_co_ci_u32_e32 v9, vcc_lo, s13, v7, vcc_lo
	s_clause 0x1
	global_load_dwordx4 v[50:53], v[6:7], off
	global_load_dwordx4 v[54:57], v[8:9], off
	v_add_co_u32 v2, vcc_lo, v8, s12
	v_add_co_ci_u32_e32 v3, vcc_lo, s13, v9, vcc_lo
	global_load_dwordx4 v[110:113], v[10:11], off offset:944
	v_add_co_u32 v4, vcc_lo, v2, s12
	v_add_co_ci_u32_e32 v5, vcc_lo, s13, v3, vcc_lo
	global_load_dwordx4 v[58:61], v[2:3], off
	v_add_co_u32 v2, vcc_lo, v4, s12
	v_add_co_ci_u32_e32 v3, vcc_lo, s13, v5, vcc_lo
	global_load_dwordx4 v[62:65], v[4:5], off
	;; [unrolled: 3-line block ×3, first 2 shown]
	v_add_co_u32 v2, vcc_lo, v4, s12
	global_load_dwordx4 v[70:73], v[4:5], off
	buffer_store_dword v10, off, s[24:27], 0 offset:8 ; 4-byte Folded Spill
	buffer_store_dword v11, off, s[24:27], 0 offset:12 ; 4-byte Folded Spill
	v_add_co_ci_u32_e32 v3, vcc_lo, s13, v5, vcc_lo
	v_add_co_u32 v40, vcc_lo, v2, s12
	global_load_dwordx4 v[106:109], v[10:11], off offset:1664
	global_load_dwordx4 v[74:77], v[2:3], off
	buffer_store_dword v12, off, s[24:27], 0 offset:16 ; 4-byte Folded Spill
	buffer_store_dword v13, off, s[24:27], 0 offset:20 ; 4-byte Folded Spill
	v_add_co_ci_u32_e32 v41, vcc_lo, s13, v3, vcc_lo
	s_waitcnt vmcnt(10)
	v_mul_f64 v[0:1], v[44:45], v[96:97]
	s_waitcnt vmcnt(9)
	v_mul_f64 v[4:5], v[48:49], v[100:101]
	;; [unrolled: 2-line block ×7, first 2 shown]
	v_mul_f64 v[2:3], v[42:43], v[96:97]
	v_mul_f64 v[6:7], v[46:47], v[100:101]
	;; [unrolled: 1-line block ×8, first 2 shown]
	v_cmp_gt_u16_e32 vcc_lo, 15, v32
	global_load_dwordx4 v[114:117], v[12:13], off offset:336
	global_load_dwordx4 v[78:81], v[40:41], off
	v_mul_f64 v[12:13], v[56:57], v[38:39]
	s_waitcnt vmcnt(2)
	v_mul_f64 v[82:83], v[76:77], v[108:109]
	v_fma_f64 v[0:1], v[42:43], v[94:95], v[0:1]
	buffer_store_dword v94, off, s[24:27], 0 offset:48 ; 4-byte Folded Spill
	buffer_store_dword v95, off, s[24:27], 0 offset:52 ; 4-byte Folded Spill
	buffer_store_dword v96, off, s[24:27], 0 offset:56 ; 4-byte Folded Spill
	buffer_store_dword v97, off, s[24:27], 0 offset:60 ; 4-byte Folded Spill
	v_fma_f64 v[42:43], v[46:47], v[98:99], v[4:5]
	buffer_store_dword v98, off, s[24:27], 0 offset:64 ; 4-byte Folded Spill
	buffer_store_dword v99, off, s[24:27], 0 offset:68 ; 4-byte Folded Spill
	buffer_store_dword v100, off, s[24:27], 0 offset:72 ; 4-byte Folded Spill
	buffer_store_dword v101, off, s[24:27], 0 offset:76 ; 4-byte Folded Spill
	;; [unrolled: 5-line block ×3, first 2 shown]
	v_mul_f64 v[84:85], v[74:75], v[108:109]
	v_fma_f64 v[50:51], v[54:55], v[36:37], v[12:13]
	v_fma_f64 v[54:55], v[58:59], v[122:123], v[16:17]
	buffer_store_dword v122, off, s[24:27], 0 offset:160 ; 4-byte Folded Spill
	buffer_store_dword v123, off, s[24:27], 0 offset:164 ; 4-byte Folded Spill
	buffer_store_dword v124, off, s[24:27], 0 offset:168 ; 4-byte Folded Spill
	buffer_store_dword v125, off, s[24:27], 0 offset:172 ; 4-byte Folded Spill
	v_fma_f64 v[58:59], v[62:63], v[118:119], v[20:21]
	buffer_store_dword v118, off, s[24:27], 0 offset:144 ; 4-byte Folded Spill
	buffer_store_dword v119, off, s[24:27], 0 offset:148 ; 4-byte Folded Spill
	buffer_store_dword v120, off, s[24:27], 0 offset:152 ; 4-byte Folded Spill
	buffer_store_dword v121, off, s[24:27], 0 offset:156 ; 4-byte Folded Spill
	;; [unrolled: 5-line block ×5, first 2 shown]
	s_waitcnt vmcnt(0)
	v_mul_f64 v[86:87], v[80:81], v[116:117]
	v_mul_f64 v[88:89], v[78:79], v[116:117]
	v_fma_f64 v[2:3], v[44:45], v[94:95], -v[2:3]
	v_fma_f64 v[44:45], v[48:49], v[98:99], -v[6:7]
	;; [unrolled: 1-line block ×4, first 2 shown]
	v_fma_f64 v[74:75], v[78:79], v[114:115], v[86:87]
	buffer_store_dword v114, off, s[24:27], 0 offset:128 ; 4-byte Folded Spill
	buffer_store_dword v115, off, s[24:27], 0 offset:132 ; 4-byte Folded Spill
	;; [unrolled: 1-line block ×4, first 2 shown]
	v_fma_f64 v[56:57], v[60:61], v[122:123], -v[18:19]
	v_fma_f64 v[60:61], v[64:65], v[118:119], -v[22:23]
	v_fma_f64 v[64:65], v[68:69], v[102:103], -v[26:27]
	s_load_dwordx4 s[8:11], s[10:11], 0x0
	v_fma_f64 v[68:69], v[72:73], v[110:111], -v[30:31]
	ds_write_b128 v255, v[0:3]
	ds_write_b128 v255, v[42:45] offset:720
	ds_write_b128 v255, v[46:49] offset:1440
	;; [unrolled: 1-line block ×5, first 2 shown]
	v_fma_f64 v[72:73], v[76:77], v[106:107], -v[84:85]
	v_fma_f64 v[76:77], v[80:81], v[114:115], -v[88:89]
	ds_write_b128 v255, v[62:65] offset:4320
	ds_write_b128 v255, v[66:69] offset:5040
	;; [unrolled: 1-line block ×4, first 2 shown]
	s_and_saveexec_b32 s14, vcc_lo
	s_cbranch_execz .LBB0_3
; %bb.2:
	v_mad_u64_u32 v[4:5], null, 0xffffe890, s0, v[40:41]
	s_clause 0x2
	global_load_dwordx4 v[0:3], v[248:249], off offset:480
	global_load_dwordx4 v[40:43], v[248:249], off offset:1200
	;; [unrolled: 1-line block ×3, first 2 shown]
	s_clause 0x1
	buffer_load_dword v14, off, s[24:27], 0
	buffer_load_dword v15, off, s[24:27], 0 offset:4
	s_mulk_i32 s1, 0xe890
	s_waitcnt vmcnt(0)
	s_clause 0x1
	global_load_dwordx4 v[48:51], v[14:15], off offset:592
	global_load_dwordx4 v[52:55], v[14:15], off offset:1312
	s_sub_i32 s0, s1, s0
	v_add_nc_u32_e32 v5, s0, v5
	v_add_co_u32 v6, s0, v4, s12
	v_add_co_ci_u32_e64 v7, s0, s13, v5, s0
	v_add_co_u32 v8, s0, v6, s12
	global_load_dwordx4 v[56:59], v[4:5], off
	v_add_co_ci_u32_e64 v9, s0, s13, v7, s0
	v_add_co_u32 v10, s0, v8, s12
	global_load_dwordx4 v[60:63], v[6:7], off
	v_add_co_ci_u32_e64 v11, s0, s13, v9, s0
	v_add_co_u32 v12, s0, v10, s12
	v_add_co_ci_u32_e64 v13, s0, s13, v11, s0
	v_add_co_u32 v4, s0, v12, s12
	;; [unrolled: 2-line block ×3, first 2 shown]
	v_add_co_ci_u32_e64 v7, s0, s13, v5, s0
	global_load_dwordx4 v[64:67], v[8:9], off
	global_load_dwordx4 v[68:71], v[10:11], off
	;; [unrolled: 1-line block ×5, first 2 shown]
	global_load_dwordx4 v[84:87], v[14:15], off offset:2032
	s_clause 0x1
	buffer_load_dword v8, off, s[24:27], 0 offset:8
	buffer_load_dword v9, off, s[24:27], 0 offset:12
	v_add_co_u32 v4, s0, v6, s12
	v_add_co_ci_u32_e64 v5, s0, s13, v7, s0
	v_add_co_u32 v6, s0, v4, s12
	v_add_co_ci_u32_e64 v7, s0, s13, v5, s0
	global_load_dwordx4 v[92:95], v[4:5], off
	v_add_co_u32 v4, s0, v6, s12
	v_add_co_ci_u32_e64 v5, s0, s13, v7, s0
	s_waitcnt vmcnt(8)
	v_mul_f64 v[10:11], v[66:67], v[46:47]
	v_mul_f64 v[12:13], v[64:65], v[46:47]
	s_waitcnt vmcnt(7)
	v_mul_f64 v[14:15], v[70:71], v[50:51]
	v_mul_f64 v[16:17], v[68:69], v[50:51]
	;; [unrolled: 3-line block ×3, first 2 shown]
	s_waitcnt vmcnt(1)
	s_clause 0x1
	global_load_dwordx4 v[88:91], v[8:9], off offset:704
	global_load_dwordx4 v[96:99], v[8:9], off offset:1424
	global_load_dwordx4 v[100:103], v[6:7], off
	s_clause 0x1
	buffer_load_dword v6, off, s[24:27], 0 offset:16
	buffer_load_dword v7, off, s[24:27], 0 offset:20
	v_mul_f64 v[8:9], v[60:61], v[42:43]
	v_mul_f64 v[22:23], v[78:79], v[86:87]
	;; [unrolled: 1-line block ×3, first 2 shown]
	s_waitcnt vmcnt(0)
	s_clause 0x1
	global_load_dwordx4 v[104:107], v[6:7], off offset:96
	global_load_dwordx4 v[108:111], v[6:7], off offset:816
	global_load_dwordx4 v[112:115], v[4:5], off
	v_mul_f64 v[4:5], v[58:59], v[2:3]
	v_mul_f64 v[2:3], v[56:57], v[2:3]
	v_mul_f64 v[6:7], v[62:63], v[42:43]
	v_mul_f64 v[26:27], v[82:83], v[90:91]
	v_mul_f64 v[28:29], v[80:81], v[90:91]
	v_mul_f64 v[30:31], v[94:95], v[98:99]
	v_mul_f64 v[86:87], v[92:93], v[98:99]
	v_fma_f64 v[42:43], v[66:67], v[44:45], -v[12:13]
	v_fma_f64 v[46:47], v[70:71], v[48:49], -v[16:17]
	;; [unrolled: 1-line block ×3, first 2 shown]
	v_fma_f64 v[54:55], v[56:57], v[0:1], v[4:5]
	v_fma_f64 v[56:57], v[58:59], v[0:1], -v[2:3]
	v_fma_f64 v[0:1], v[60:61], v[40:41], v[6:7]
	v_fma_f64 v[2:3], v[62:63], v[40:41], -v[8:9]
	v_fma_f64 v[40:41], v[64:65], v[44:45], v[10:11]
	v_fma_f64 v[44:45], v[68:69], v[48:49], v[14:15]
	;; [unrolled: 1-line block ×4, first 2 shown]
	v_fma_f64 v[60:61], v[78:79], v[84:85], -v[24:25]
	v_fma_f64 v[62:63], v[80:81], v[88:89], v[26:27]
	v_fma_f64 v[64:65], v[82:83], v[88:89], -v[28:29]
	v_fma_f64 v[66:67], v[92:93], v[96:97], v[30:31]
	v_fma_f64 v[68:69], v[94:95], v[96:97], -v[86:87]
	s_waitcnt vmcnt(2)
	v_mul_f64 v[90:91], v[102:103], v[106:107]
	v_mul_f64 v[98:99], v[100:101], v[106:107]
	s_waitcnt vmcnt(0)
	v_mul_f64 v[106:107], v[114:115], v[110:111]
	v_mul_f64 v[110:111], v[112:113], v[110:111]
	v_fma_f64 v[70:71], v[100:101], v[104:105], v[90:91]
	v_fma_f64 v[72:73], v[102:103], v[104:105], -v[98:99]
	v_fma_f64 v[74:75], v[112:113], v[108:109], v[106:107]
	v_fma_f64 v[76:77], v[114:115], v[108:109], -v[110:111]
	ds_write_b128 v255, v[54:57] offset:480
	ds_write_b128 v255, v[0:3] offset:1200
	;; [unrolled: 1-line block ×10, first 2 shown]
.LBB0_3:
	s_or_b32 exec_lo, exec_lo, s14
	s_waitcnt lgkmcnt(0)
	s_waitcnt_vscnt null, 0x0
	s_barrier
	buffer_gl0_inv
	ds_read_b128 v[104:107], v255
	ds_read_b128 v[108:111], v255 offset:720
	ds_read_b128 v[116:119], v255 offset:1440
	;; [unrolled: 1-line block ×9, first 2 shown]
	s_load_dwordx2 s[4:5], s[4:5], 0x8
                                        ; implicit-def: $vgpr40_vgpr41
                                        ; implicit-def: $vgpr48_vgpr49
                                        ; implicit-def: $vgpr44_vgpr45
                                        ; implicit-def: $vgpr56_vgpr57
                                        ; implicit-def: $vgpr52_vgpr53
                                        ; implicit-def: $vgpr64_vgpr65
                                        ; implicit-def: $vgpr76_vgpr77
                                        ; implicit-def: $vgpr68_vgpr69
                                        ; implicit-def: $vgpr60_vgpr61
                                        ; implicit-def: $vgpr72_vgpr73
	s_and_saveexec_b32 s0, vcc_lo
	s_cbranch_execz .LBB0_5
; %bb.4:
	ds_read_b128 v[40:43], v255 offset:480
	ds_read_b128 v[48:51], v255 offset:1200
	;; [unrolled: 1-line block ×10, first 2 shown]
.LBB0_5:
	s_or_b32 exec_lo, exec_lo, s0
	s_waitcnt lgkmcnt(0)
	v_add_f64 v[0:1], v[100:101], v[92:93]
	v_add_f64 v[4:5], v[112:113], v[84:85]
	v_add_f64 v[18:19], v[114:115], -v[86:87]
	v_add_f64 v[22:23], v[102:103], v[94:95]
	s_mov_b32 s14, 0x134454ff
	s_mov_b32 s15, 0x3fee6f0e
	;; [unrolled: 1-line block ×4, first 2 shown]
	v_add_f64 v[2:3], v[114:115], v[86:87]
	v_add_f64 v[8:9], v[96:97], v[88:89]
	v_add_f64 v[20:21], v[102:103], -v[94:95]
	v_add_f64 v[26:27], v[116:117], v[80:81]
	v_add_f64 v[130:131], v[112:113], -v[100:101]
	v_add_f64 v[132:133], v[84:85], -v[92:93]
	;; [unrolled: 1-line block ×5, first 2 shown]
	s_mov_b32 s12, 0x4755a5e
	s_mov_b32 s13, 0x3fe2cf23
	;; [unrolled: 1-line block ×4, first 2 shown]
	v_add_f64 v[6:7], v[104:105], v[116:117]
	v_fma_f64 v[0:1], v[0:1], -0.5, v[108:109]
	v_fma_f64 v[4:5], v[4:5], -0.5, v[108:109]
	v_add_f64 v[10:11], v[118:119], -v[82:83]
	v_fma_f64 v[22:23], v[22:23], -0.5, v[110:111]
	v_add_f64 v[14:15], v[116:117], -v[96:97]
	v_add_f64 v[16:17], v[80:81], -v[88:89]
	v_add_f64 v[24:25], v[100:101], -v[92:93]
	v_add_f64 v[28:29], v[96:97], -v[116:117]
	v_fma_f64 v[2:3], v[2:3], -0.5, v[110:111]
	v_add_f64 v[30:31], v[88:89], -v[80:81]
	v_add_f64 v[120:121], v[106:107], v[118:119]
	v_add_f64 v[122:123], v[98:99], v[90:91]
	v_add_f64 v[140:141], v[102:103], -v[114:115]
	v_add_f64 v[142:143], v[94:95], -v[86:87]
	v_add_f64 v[144:145], v[118:119], v[82:83]
	v_add_f64 v[108:109], v[108:109], v[112:113]
	;; [unrolled: 1-line block ×3, first 2 shown]
	v_add_f64 v[112:113], v[114:115], -v[102:103]
	v_add_f64 v[114:115], v[86:87], -v[94:95]
	v_fma_f64 v[8:9], v[8:9], -0.5, v[104:105]
	v_fma_f64 v[26:27], v[26:27], -0.5, v[104:105]
	v_add_f64 v[104:105], v[130:131], v[132:133]
	v_fma_f64 v[146:147], v[18:19], s[14:15], v[0:1]
	v_fma_f64 v[0:1], v[18:19], s[16:17], v[0:1]
	;; [unrolled: 1-line block ×4, first 2 shown]
	v_add_f64 v[130:131], v[134:135], v[136:137]
	v_fma_f64 v[134:135], v[138:139], s[16:17], v[22:23]
	v_fma_f64 v[22:23], v[138:139], s[14:15], v[22:23]
	s_mov_b32 s0, 0x372fe950
	s_mov_b32 s1, 0x3fd3c6ef
	v_add_f64 v[12:13], v[98:99], -v[90:91]
	v_add_f64 v[116:117], v[116:117], -v[80:81]
	;; [unrolled: 1-line block ×3, first 2 shown]
	v_fma_f64 v[148:149], v[24:25], s[14:15], v[2:3]
	v_add_f64 v[132:133], v[140:141], v[142:143]
	v_fma_f64 v[2:3], v[24:25], s[16:17], v[2:3]
	v_fma_f64 v[122:123], v[122:123], -0.5, v[106:107]
	v_fma_f64 v[106:107], v[144:145], -0.5, v[106:107]
	v_add_f64 v[6:7], v[6:7], v[96:97]
	v_add_f64 v[14:15], v[14:15], v[16:17]
	v_add_f64 v[16:17], v[28:29], v[30:31]
	v_add_f64 v[28:29], v[112:113], v[114:115]
	v_fma_f64 v[30:31], v[10:11], s[14:15], v[8:9]
	v_fma_f64 v[136:137], v[20:21], s[12:13], v[146:147]
	;; [unrolled: 1-line block ×5, first 2 shown]
	v_add_f64 v[18:19], v[108:109], v[100:101]
	v_fma_f64 v[100:101], v[24:25], s[18:19], v[134:135]
	v_fma_f64 v[8:9], v[10:11], s[16:17], v[8:9]
	v_fma_f64 v[22:23], v[24:25], s[12:13], v[22:23]
	v_add_f64 v[24:25], v[120:121], v[98:99]
	s_mov_b32 s20, 0x9b97f4a8
	s_mov_b32 s21, 0x3fe9e377
	v_add_f64 v[126:127], v[118:119], -v[98:99]
	v_add_f64 v[128:129], v[82:83], -v[90:91]
	;; [unrolled: 1-line block ×4, first 2 shown]
	v_fma_f64 v[96:97], v[12:13], s[16:17], v[26:27]
	v_fma_f64 v[26:27], v[12:13], s[14:15], v[26:27]
	;; [unrolled: 1-line block ×3, first 2 shown]
	v_add_f64 v[98:99], v[110:111], v[102:103]
	v_fma_f64 v[102:103], v[116:117], s[16:17], v[122:123]
	v_add_f64 v[6:7], v[6:7], v[88:89]
	v_fma_f64 v[88:89], v[116:117], s[14:15], v[122:123]
	v_fma_f64 v[108:109], v[104:105], s[0:1], v[136:137]
	;; [unrolled: 1-line block ×6, first 2 shown]
	v_add_f64 v[18:19], v[18:19], v[92:93]
	v_fma_f64 v[30:31], v[12:13], s[12:13], v[30:31]
	v_fma_f64 v[8:9], v[12:13], s[18:19], v[8:9]
	;; [unrolled: 1-line block ×3, first 2 shown]
	v_add_f64 v[24:25], v[24:25], v[90:91]
	v_fma_f64 v[140:141], v[138:139], s[18:19], v[148:149]
	v_add_f64 v[146:147], v[40:41], v[44:45]
	v_add_f64 v[110:111], v[126:127], v[128:129]
	v_add_f64 v[122:123], v[56:57], v[72:73]
	v_add_f64 v[118:119], v[118:119], v[152:153]
	v_fma_f64 v[92:93], v[10:11], s[12:13], v[96:97]
	v_fma_f64 v[10:11], v[10:11], s[18:19], v[26:27]
	;; [unrolled: 1-line block ×4, first 2 shown]
	v_add_f64 v[28:29], v[98:99], v[94:95]
	v_fma_f64 v[90:91], v[124:125], s[18:19], v[102:103]
	v_add_f64 v[6:7], v[6:7], v[80:81]
	v_mul_f64 v[96:97], v[108:109], s[20:21]
	v_mul_f64 v[22:23], v[0:1], s[20:21]
	;; [unrolled: 1-line block ×3, first 2 shown]
	v_fma_f64 v[94:95], v[116:117], s[18:19], v[104:105]
	v_add_f64 v[104:105], v[64:65], v[68:69]
	v_fma_f64 v[80:81], v[124:125], s[12:13], v[88:89]
	v_fma_f64 v[88:89], v[116:117], s[12:13], v[106:107]
	v_add_f64 v[18:19], v[18:19], v[84:85]
	v_fma_f64 v[30:31], v[14:15], s[0:1], v[30:31]
	v_add_f64 v[84:85], v[58:59], v[74:75]
	v_fma_f64 v[8:9], v[14:15], s[0:1], v[8:9]
	v_fma_f64 v[112:113], v[132:133], s[0:1], v[140:141]
	;; [unrolled: 1-line block ×3, first 2 shown]
	v_mul_f64 v[98:99], v[108:109], s[18:19]
	v_add_f64 v[20:21], v[52:53], v[76:77]
	v_fma_f64 v[127:128], v[16:17], s[0:1], v[92:93]
	v_fma_f64 v[10:11], v[16:17], s[0:1], v[10:11]
	v_add_f64 v[124:125], v[56:57], -v[64:65]
	v_add_f64 v[129:130], v[72:73], -v[68:69]
	;; [unrolled: 1-line block ×5, first 2 shown]
	v_fma_f64 v[16:17], v[26:27], s[12:13], v[96:97]
	v_fma_f64 v[14:15], v[12:13], s[12:13], -v[22:23]
	v_add_f64 v[22:23], v[24:25], v[82:83]
	v_mul_f64 v[12:13], v[12:13], s[20:21]
	v_add_f64 v[82:83], v[66:67], v[70:71]
	v_fma_f64 v[131:132], v[2:3], s[14:15], -v[120:121]
	v_add_f64 v[24:25], v[28:29], v[86:87]
	v_fma_f64 v[28:29], v[110:111], s[0:1], v[90:91]
	v_fma_f64 v[135:136], v[118:119], s[0:1], v[94:95]
	v_mul_f64 v[2:3], v[2:3], s[0:1]
	v_add_f64 v[86:87], v[58:59], -v[74:75]
	v_add_f64 v[90:91], v[146:147], v[52:53]
	v_fma_f64 v[94:95], v[104:105], -0.5, v[48:49]
	v_fma_f64 v[141:142], v[110:111], s[0:1], v[80:81]
	v_fma_f64 v[146:147], v[118:119], s[0:1], v[88:89]
	v_add_f64 v[80:81], v[64:65], -v[68:69]
	v_fma_f64 v[84:85], v[84:85], -0.5, v[50:51]
	v_add_f64 v[88:89], v[66:67], -v[70:71]
	v_fma_f64 v[96:97], v[122:123], -0.5, v[48:49]
	v_fma_f64 v[26:27], v[26:27], s[20:21], v[98:99]
	v_add_f64 v[98:99], v[44:45], v[60:61]
	v_add_f64 v[120:121], v[46:47], v[62:63]
	v_add_f64 v[154:155], v[70:71], -v[74:75]
	v_add_f64 v[158:159], v[58:59], -v[66:67]
	;; [unrolled: 1-line block ×3, first 2 shown]
	v_fma_f64 v[0:1], v[0:1], s[18:19], -v[12:13]
	v_fma_f64 v[12:13], v[82:83], -0.5, v[50:51]
	v_add_f64 v[82:83], v[56:57], -v[72:73]
	v_add_f64 v[148:149], v[46:47], -v[62:63]
	;; [unrolled: 1-line block ×3, first 2 shown]
	v_fma_f64 v[20:21], v[20:21], -0.5, v[40:41]
	v_fma_f64 v[2:3], v[114:115], s[16:17], -v[2:3]
	v_add_f64 v[114:115], v[54:55], v[78:79]
	v_add_f64 v[118:119], v[44:45], -v[52:53]
	v_fma_f64 v[122:123], v[86:87], s[14:15], v[94:95]
	v_fma_f64 v[94:95], v[86:87], s[16:17], v[94:95]
	v_add_f64 v[164:165], v[42:43], v[46:47]
	v_add_f64 v[166:167], v[44:45], -v[60:61]
	v_fma_f64 v[150:151], v[80:81], s[14:15], v[84:85]
	v_fma_f64 v[84:85], v[80:81], s[16:17], v[84:85]
	;; [unrolled: 1-line block ×4, first 2 shown]
	v_fma_f64 v[40:41], v[98:99], -0.5, v[40:41]
	v_add_f64 v[98:99], v[60:61], -v[76:77]
	v_add_f64 v[168:169], v[52:53], -v[76:77]
	v_add_f64 v[48:49], v[48:49], v[56:57]
	v_add_f64 v[50:51], v[50:51], v[58:59]
	v_add_f64 v[44:45], v[52:53], -v[44:45]
	v_add_f64 v[58:59], v[158:159], v[160:161]
	v_fma_f64 v[162:163], v[82:83], s[14:15], v[12:13]
	v_fma_f64 v[12:13], v[82:83], s[16:17], v[12:13]
	v_add_f64 v[90:91], v[90:91], v[76:77]
	v_fma_f64 v[92:93], v[148:149], s[14:15], v[20:21]
	v_fma_f64 v[20:21], v[148:149], s[16:17], v[20:21]
	v_fma_f64 v[114:115], v[114:115], -0.5, v[42:43]
	v_fma_f64 v[42:43], v[120:121], -0.5, v[42:43]
	v_fma_f64 v[56:57], v[88:89], s[12:13], v[122:123]
	v_add_f64 v[120:121], v[124:125], v[129:130]
	v_add_f64 v[122:123], v[133:134], v[137:138]
	;; [unrolled: 1-line block ×3, first 2 shown]
	v_fma_f64 v[124:125], v[82:83], s[18:19], v[150:151]
	v_fma_f64 v[88:89], v[88:89], s[18:19], v[94:95]
	;; [unrolled: 1-line block ×6, first 2 shown]
	v_add_f64 v[76:77], v[76:77], -v[60:61]
	v_fma_f64 v[40:41], v[144:145], s[14:15], v[40:41]
	v_add_f64 v[86:87], v[164:165], v[54:55]
	v_add_f64 v[96:97], v[46:47], -v[54:55]
	v_add_f64 v[150:151], v[62:63], -v[78:79]
	v_fma_f64 v[84:85], v[80:81], s[12:13], v[162:163]
	v_add_f64 v[46:47], v[54:55], -v[46:47]
	v_add_f64 v[48:49], v[48:49], v[64:65]
	v_fma_f64 v[12:13], v[80:81], s[18:19], v[12:13]
	v_add_f64 v[50:51], v[50:51], v[66:67]
	v_fma_f64 v[94:95], v[166:167], s[16:17], v[114:115]
	v_fma_f64 v[114:115], v[166:167], s[14:15], v[114:115]
	;; [unrolled: 1-line block ×4, first 2 shown]
	v_add_f64 v[56:57], v[78:79], -v[62:63]
	v_add_f64 v[66:67], v[118:119], v[98:99]
	v_fma_f64 v[64:65], v[129:130], s[0:1], v[124:125]
	v_fma_f64 v[120:121], v[120:121], s[0:1], v[88:89]
	;; [unrolled: 1-line block ×6, first 2 shown]
	v_mul_f64 v[100:101], v[112:113], s[14:15]
	v_fma_f64 v[92:93], v[144:145], s[12:13], v[92:93]
	v_fma_f64 v[20:21], v[144:145], s[18:19], v[20:21]
	;; [unrolled: 1-line block ×3, first 2 shown]
	v_add_f64 v[76:77], v[44:45], v[76:77]
	v_fma_f64 v[84:85], v[58:59], s[0:1], v[84:85]
	v_fma_f64 v[80:81], v[148:149], s[18:19], v[40:41]
	v_add_f64 v[78:79], v[86:87], v[78:79]
	v_add_f64 v[86:87], v[96:97], v[150:151]
	;; [unrolled: 1-line block ×3, first 2 shown]
	v_fma_f64 v[82:83], v[168:169], s[18:19], v[94:95]
	v_fma_f64 v[94:95], v[168:169], s[12:13], v[114:115]
	;; [unrolled: 1-line block ×4, first 2 shown]
	v_mul_f64 v[58:59], v[54:55], s[20:21]
	v_add_f64 v[133:134], v[46:47], v[56:57]
	v_mul_f64 v[122:123], v[64:65], s[14:15]
	v_mul_f64 v[137:138], v[120:121], s[20:21]
	;; [unrolled: 1-line block ×3, first 2 shown]
	v_add_f64 v[70:71], v[50:51], v[70:71]
	v_mul_f64 v[143:144], v[54:55], s[18:19]
	v_mul_f64 v[148:149], v[88:89], s[16:17]
	v_fma_f64 v[150:151], v[166:167], s[12:13], v[42:43]
	v_mul_f64 v[152:153], v[98:99], s[0:1]
	v_mul_f64 v[102:103], v[4:5], s[16:17]
	v_fma_f64 v[4:5], v[4:5], s[0:1], v[100:101]
	v_add_f64 v[42:43], v[90:91], v[60:61]
	v_mul_f64 v[154:155], v[84:85], s[20:21]
	v_fma_f64 v[44:45], v[66:67], s[0:1], v[92:93]
	v_fma_f64 v[40:41], v[66:67], s[0:1], v[20:21]
	v_fma_f64 v[46:47], v[76:77], s[0:1], v[52:53]
	v_fma_f64 v[48:49], v[76:77], s[0:1], v[80:81]
	v_add_f64 v[80:81], v[78:79], v[62:63]
	v_fma_f64 v[82:83], v[86:87], s[0:1], v[82:83]
	v_fma_f64 v[90:91], v[86:87], s[0:1], v[94:95]
	v_add_f64 v[50:51], v[68:69], v[72:73]
	v_fma_f64 v[52:53], v[12:13], s[12:13], v[58:59]
	v_fma_f64 v[86:87], v[133:134], s[0:1], v[96:97]
	;; [unrolled: 1-line block ×3, first 2 shown]
	v_fma_f64 v[58:59], v[84:85], s[12:13], -v[137:138]
	v_fma_f64 v[56:57], v[98:99], s[14:15], -v[129:130]
	v_add_f64 v[84:85], v[70:71], v[74:75]
	v_fma_f64 v[88:89], v[12:13], s[20:21], v[143:144]
	v_fma_f64 v[92:93], v[64:65], s[0:1], v[148:149]
	;; [unrolled: 1-line block ×3, first 2 shown]
	v_fma_f64 v[96:97], v[124:125], s[16:17], -v[152:153]
	v_fma_f64 v[139:140], v[112:113], s[0:1], v[102:103]
	v_add_f64 v[100:101], v[6:7], v[18:19]
	v_add_f64 v[108:109], v[127:128], v[4:5]
	v_fma_f64 v[98:99], v[120:121], s[18:19], -v[154:155]
	v_add_f64 v[102:103], v[22:23], v[24:25]
	v_add_f64 v[125:126], v[30:31], -v[16:17]
	v_add_f64 v[129:130], v[127:128], -v[4:5]
	;; [unrolled: 1-line block ×3, first 2 shown]
	v_add_f64 v[104:105], v[30:31], v[16:17]
	v_add_f64 v[112:113], v[10:11], v[131:132]
	;; [unrolled: 1-line block ×3, first 2 shown]
	v_add_f64 v[72:73], v[42:43], -v[50:51]
	v_add_f64 v[64:65], v[44:45], -v[52:53]
	;; [unrolled: 1-line block ×9, first 2 shown]
	v_add_f64 v[114:115], v[146:147], v[2:3]
	v_add_f64 v[62:63], v[94:95], -v[96:97]
	v_add_f64 v[131:132], v[135:136], -v[139:140]
	v_add_f64 v[110:111], v[135:136], v[139:140]
	v_add_f64 v[135:136], v[146:147], -v[2:3]
	v_add_f64 v[70:71], v[90:91], -v[98:99]
	;; [unrolled: 1-line block ×4, first 2 shown]
	v_add_f64 v[116:117], v[8:9], v[14:15]
	v_add_f64 v[118:119], v[141:142], v[0:1]
	v_add_f64 v[120:121], v[6:7], -v[18:19]
	v_add_f64 v[122:123], v[22:23], -v[24:25]
	v_mul_lo_u16 v0, v254, 10
	v_add_co_u32 v124, s20, v254, 30
	v_add_co_ci_u32_e64 v1, null, 0, 0, s20
	v_and_b32_e32 v0, 0xffff, v0
	s_barrier
	buffer_gl0_inv
	v_lshl_add_u32 v253, v0, 4, v252
	v_mul_u32_u24_e32 v0, 10, v124
	ds_write_b128 v253, v[100:103]
	ds_write_b128 v253, v[104:107] offset:16
	ds_write_b128 v253, v[108:111] offset:32
	;; [unrolled: 1-line block ×5, first 2 shown]
	buffer_store_dword v0, off, s[24:27], 0 offset:188 ; 4-byte Folded Spill
	ds_write_b128 v253, v[125:128] offset:96
	ds_write_b128 v253, v[129:132] offset:112
	ds_write_b128 v253, v[133:136] offset:128
	ds_write_b128 v253, v[137:140] offset:144
	s_and_saveexec_b32 s20, vcc_lo
	s_cbranch_execz .LBB0_7
; %bb.6:
	v_add_f64 v[90:91], v[90:91], v[98:99]
	v_add_f64 v[94:95], v[94:95], v[96:97]
	;; [unrolled: 1-line block ×10, first 2 shown]
	v_mul_u32_u24_e32 v0, 10, v124
	v_lshl_add_u32 v0, v0, 4, v252
	ds_write_b128 v0, v[72:75] offset:80
	ds_write_b128 v0, v[64:67] offset:96
	ds_write_b128 v0, v[76:79] offset:112
	ds_write_b128 v0, v[60:63] offset:128
	ds_write_b128 v0, v[96:99]
	ds_write_b128 v0, v[80:83] offset:16
	ds_write_b128 v0, v[84:87] offset:32
	;; [unrolled: 1-line block ×5, first 2 shown]
.LBB0_7:
	s_or_b32 exec_lo, exec_lo, s20
	v_and_b32_e32 v0, 0xff, v124
	v_mov_b32_e32 v4, 6
	s_waitcnt lgkmcnt(0)
	s_waitcnt_vscnt null, 0x0
	s_barrier
	buffer_gl0_inv
	v_mul_lo_u16 v0, 0xcd, v0
	v_add_co_u32 v132, null, v254, 60
	v_lshrrev_b16 v2, 11, v0
	v_and_b32_e32 v5, 0xff, v132
	v_mul_lo_u16 v0, v2, 10
	v_mul_lo_u16 v5, 0xcd, v5
	v_sub_nc_u16 v3, v124, v0
	v_lshrrev_b16 v80, 11, v5
	v_lshlrev_b32_sdwa v0, v4, v3 dst_sel:DWORD dst_unused:UNUSED_PAD src0_sel:DWORD src1_sel:BYTE_0
	s_clause 0x3
	global_load_dwordx4 v[52:55], v0, s[4:5]
	global_load_dwordx4 v[48:51], v0, s[4:5] offset:16
	global_load_dwordx4 v[44:47], v0, s[4:5] offset:32
	;; [unrolled: 1-line block ×3, first 2 shown]
	v_mul_lo_u16 v0, v80, 10
	v_sub_nc_u16 v81, v132, v0
	v_lshlrev_b32_sdwa v0, v4, v81 dst_sel:DWORD dst_unused:UNUSED_PAD src0_sel:DWORD src1_sel:BYTE_0
	s_clause 0x1
	global_load_dwordx4 v[56:59], v0, s[4:5]
	global_load_dwordx4 v[84:87], v0, s[4:5] offset:16
	ds_read_b128 v[88:91], v255 offset:1920
	ds_read_b128 v[92:95], v255 offset:3360
	;; [unrolled: 1-line block ×8, first 2 shown]
	s_waitcnt vmcnt(5) lgkmcnt(7)
	v_mul_f64 v[4:5], v[90:91], v[54:55]
	v_mul_f64 v[6:7], v[88:89], v[54:55]
	s_waitcnt vmcnt(4) lgkmcnt(6)
	v_mul_f64 v[8:9], v[94:95], v[50:51]
	s_waitcnt vmcnt(2) lgkmcnt(2)
	v_mul_f64 v[16:17], v[108:109], v[42:43]
	v_mul_f64 v[18:19], v[110:111], v[42:43]
	;; [unrolled: 1-line block ×5, first 2 shown]
	s_waitcnt vmcnt(1)
	v_mul_f64 v[20:21], v[102:103], v[58:59]
	v_mul_f64 v[22:23], v[100:101], v[58:59]
	v_fma_f64 v[4:5], v[88:89], v[52:53], -v[4:5]
	v_fma_f64 v[6:7], v[90:91], v[52:53], v[6:7]
	ds_read_b128 v[88:91], v255 offset:3840
	v_fma_f64 v[16:17], v[110:111], v[40:41], v[16:17]
	v_fma_f64 v[18:19], v[108:109], v[40:41], -v[18:19]
	ds_read_b128 v[108:111], v255 offset:4320
	v_fma_f64 v[8:9], v[92:93], v[48:49], -v[8:9]
	v_fma_f64 v[10:11], v[94:95], v[48:49], v[10:11]
	v_fma_f64 v[12:13], v[96:97], v[44:45], -v[12:13]
	v_fma_f64 v[14:15], v[98:99], v[44:45], v[14:15]
	;; [unrolled: 2-line block ×3, first 2 shown]
	s_waitcnt vmcnt(0) lgkmcnt(1)
	v_mul_f64 v[24:25], v[90:91], v[86:87]
	v_mul_f64 v[26:27], v[88:89], v[86:87]
	v_add_f64 v[141:142], v[6:7], -v[16:17]
	v_add_f64 v[145:146], v[4:5], -v[18:19]
	;; [unrolled: 1-line block ×4, first 2 shown]
	v_fma_f64 v[24:25], v[88:89], v[84:85], -v[24:25]
	v_fma_f64 v[26:27], v[90:91], v[84:85], v[26:27]
	s_clause 0x1
	global_load_dwordx4 v[92:95], v0, s[4:5] offset:32
	global_load_dwordx4 v[88:91], v0, s[4:5] offset:48
	ds_read_b128 v[96:99], v255 offset:6720
	v_and_b32_e32 v0, 0xff, v254
	v_mul_lo_u16 v0, 0xcd, v0
	v_lshrrev_b16 v0, 11, v0
	v_mul_lo_u16 v32, v0, 10
	v_sub_nc_u16 v32, v254, v32
	v_lshlrev_b16 v33, 2, v32
	v_mad_u16 v0, v0, 50, v32
	v_and_b32_e32 v33, 0xfc, v33
	v_and_b32_e32 v0, 0xff, v0
	v_lshlrev_b32_e32 v33, 4, v33
	v_lshl_add_u32 v0, v0, 4, v252
	s_waitcnt vmcnt(1)
	v_mul_f64 v[28:29], v[114:115], v[94:95]
	s_waitcnt vmcnt(0) lgkmcnt(0)
	v_mul_f64 v[82:83], v[98:99], v[90:91]
	v_mul_f64 v[30:31], v[112:113], v[94:95]
	v_fma_f64 v[28:29], v[112:113], v[92:93], -v[28:29]
	v_fma_f64 v[82:83], v[96:97], v[88:89], -v[82:83]
	v_mul_f64 v[96:97], v[96:97], v[90:91]
	v_fma_f64 v[30:31], v[114:115], v[92:93], v[30:31]
	v_add_f64 v[177:178], v[20:21], -v[82:83]
	v_fma_f64 v[129:130], v[98:99], v[88:89], v[96:97]
	s_clause 0x1
	global_load_dwordx4 v[100:103], v33, s[4:5]
	global_load_dwordx4 v[96:99], v33, s[4:5] offset:16
	ds_read_b128 v[112:115], v255 offset:1440
	ds_read_b128 v[125:128], v255 offset:960
	s_waitcnt vmcnt(1) lgkmcnt(1)
	v_mul_f64 v[116:117], v[114:115], v[102:103]
	v_fma_f64 v[161:162], v[112:113], v[100:101], -v[116:117]
	v_mul_f64 v[112:113], v[112:113], v[102:103]
	v_fma_f64 v[163:164], v[114:115], v[100:101], v[112:113]
	s_waitcnt vmcnt(0)
	v_mul_f64 v[112:113], v[106:107], v[98:99]
	v_fma_f64 v[165:166], v[104:105], v[96:97], -v[112:113]
	s_clause 0x1
	global_load_dwordx4 v[116:119], v33, s[4:5] offset:32
	global_load_dwordx4 v[112:115], v33, s[4:5] offset:48
	v_mul_f64 v[104:105], v[104:105], v[98:99]
	v_fma_f64 v[167:168], v[106:107], v[96:97], v[104:105]
	v_add_f64 v[106:107], v[18:19], -v[12:13]
	s_waitcnt vmcnt(1)
	v_mul_f64 v[104:105], v[110:111], v[118:119]
	v_fma_f64 v[169:170], v[108:109], v[116:117], -v[104:105]
	v_mul_f64 v[104:105], v[108:109], v[118:119]
	v_add_f64 v[181:182], v[165:166], -v[169:170]
	v_fma_f64 v[171:172], v[110:111], v[116:117], v[104:105]
	s_waitcnt vmcnt(0)
	v_mul_f64 v[104:105], v[122:123], v[114:115]
	v_fma_f64 v[173:174], v[120:121], v[112:113], -v[104:105]
	v_mul_f64 v[104:105], v[120:121], v[114:115]
	v_add_f64 v[120:121], v[8:9], v[12:13]
	v_add_f64 v[183:184], v[161:162], -v[173:174]
	v_fma_f64 v[175:176], v[122:123], v[112:113], v[104:105]
	v_add_f64 v[104:105], v[4:5], -v[8:9]
	v_add_f64 v[179:180], v[163:164], -v[175:176]
	v_add_f64 v[133:134], v[104:105], v[106:107]
	v_add_f64 v[104:105], v[6:7], -v[10:11]
	v_add_f64 v[106:107], v[16:17], -v[14:15]
	v_add_f64 v[135:136], v[104:105], v[106:107]
	ds_read_b128 v[104:107], v255 offset:480
	ds_read_b128 v[108:111], v255
	s_waitcnt lgkmcnt(0)
	s_barrier
	buffer_gl0_inv
	v_fma_f64 v[137:138], v[120:121], -0.5, v[104:105]
	v_add_f64 v[120:121], v[10:11], v[14:15]
	v_fma_f64 v[139:140], v[120:121], -0.5, v[106:107]
	v_fma_f64 v[120:121], v[141:142], s[14:15], v[137:138]
	v_fma_f64 v[137:138], v[141:142], s[16:17], v[137:138]
	;; [unrolled: 1-line block ×10, first 2 shown]
	v_add_f64 v[137:138], v[4:5], v[18:19]
	v_fma_f64 v[122:123], v[135:136], s[0:1], v[122:123]
	v_fma_f64 v[135:136], v[135:136], s[0:1], v[139:140]
	v_add_f64 v[139:140], v[6:7], v[16:17]
	v_fma_f64 v[137:138], v[137:138], -0.5, v[104:105]
	v_add_f64 v[104:105], v[104:105], v[4:5]
	v_add_f64 v[4:5], v[8:9], -v[4:5]
	v_fma_f64 v[139:140], v[139:140], -0.5, v[106:107]
	v_add_f64 v[106:107], v[106:107], v[6:7]
	v_add_f64 v[6:7], v[10:11], -v[6:7]
	v_add_f64 v[8:9], v[104:105], v[8:9]
	v_add_f64 v[104:105], v[106:107], v[10:11]
	v_add_f64 v[8:9], v[8:9], v[12:13]
	v_add_f64 v[12:13], v[12:13], -v[18:19]
	v_add_f64 v[10:11], v[104:105], v[14:15]
	v_add_f64 v[104:105], v[8:9], v[18:19]
	v_add_f64 v[8:9], v[14:15], -v[16:17]
	v_fma_f64 v[14:15], v[143:144], s[14:15], v[137:138]
	v_fma_f64 v[18:19], v[147:148], s[16:17], v[139:140]
	v_add_f64 v[4:5], v[4:5], v[12:13]
	v_add_f64 v[106:107], v[10:11], v[16:17]
	v_fma_f64 v[10:11], v[143:144], s[16:17], v[137:138]
	v_fma_f64 v[16:17], v[147:148], s[14:15], v[139:140]
	v_add_f64 v[6:7], v[6:7], v[8:9]
	v_fma_f64 v[8:9], v[141:142], s[12:13], v[10:11]
	v_fma_f64 v[10:11], v[141:142], s[18:19], v[14:15]
	;; [unrolled: 1-line block ×4, first 2 shown]
	v_add_f64 v[18:19], v[24:25], -v[28:29]
	v_fma_f64 v[137:138], v[4:5], s[0:1], v[8:9]
	v_fma_f64 v[141:142], v[4:5], s[0:1], v[10:11]
	v_fma_f64 v[139:140], v[6:7], s[0:1], v[12:13]
	v_fma_f64 v[143:144], v[6:7], s[0:1], v[14:15]
	v_add_f64 v[4:5], v[24:25], -v[20:21]
	v_add_f64 v[6:7], v[28:29], -v[82:83]
	;; [unrolled: 1-line block ×3, first 2 shown]
	v_add_f64 v[10:11], v[22:23], v[129:130]
	v_add_f64 v[12:13], v[26:27], -v[30:31]
	v_add_f64 v[14:15], v[22:23], -v[129:130]
	v_add_f64 v[4:5], v[4:5], v[6:7]
	v_add_f64 v[6:7], v[26:27], -v[22:23]
	v_fma_f64 v[10:11], v[10:11], -0.5, v[127:128]
	v_add_f64 v[6:7], v[6:7], v[8:9]
	v_add_f64 v[8:9], v[20:21], v[82:83]
	v_fma_f64 v[145:146], v[18:19], s[14:15], v[10:11]
	v_fma_f64 v[10:11], v[18:19], s[16:17], v[10:11]
	v_fma_f64 v[8:9], v[8:9], -0.5, v[125:126]
	v_fma_f64 v[147:148], v[177:178], s[18:19], v[145:146]
	v_fma_f64 v[10:11], v[177:178], s[12:13], v[10:11]
	;; [unrolled: 1-line block ×6, first 2 shown]
	v_add_f64 v[6:7], v[169:170], -v[173:174]
	v_add_f64 v[10:11], v[163:164], v[175:176]
	v_fma_f64 v[16:17], v[14:15], s[12:13], v[16:17]
	v_fma_f64 v[8:9], v[14:15], s[18:19], v[8:9]
	v_fma_f64 v[10:11], v[10:11], -0.5, v[110:111]
	v_fma_f64 v[145:146], v[4:5], s[0:1], v[16:17]
	v_fma_f64 v[149:150], v[4:5], s[0:1], v[8:9]
	v_add_f64 v[4:5], v[165:166], -v[161:162]
	v_add_f64 v[8:9], v[171:172], -v[175:176]
	;; [unrolled: 1-line block ×3, first 2 shown]
	v_fma_f64 v[155:156], v[181:182], s[14:15], v[10:11]
	v_fma_f64 v[10:11], v[181:182], s[16:17], v[10:11]
	v_add_f64 v[4:5], v[4:5], v[6:7]
	v_add_f64 v[6:7], v[167:168], -v[163:164]
	v_fma_f64 v[155:156], v[183:184], s[18:19], v[155:156]
	v_fma_f64 v[10:11], v[183:184], s[12:13], v[10:11]
	v_add_f64 v[6:7], v[6:7], v[8:9]
	v_add_f64 v[8:9], v[161:162], v[173:174]
	v_fma_f64 v[159:160], v[6:7], s[0:1], v[10:11]
	v_fma_f64 v[8:9], v[8:9], -0.5, v[108:109]
	v_add_f64 v[10:11], v[110:111], v[163:164]
	v_fma_f64 v[155:156], v[6:7], s[0:1], v[155:156]
	v_add_f64 v[6:7], v[167:168], v[171:172]
	v_add_f64 v[163:164], v[163:164], -v[167:168]
	v_fma_f64 v[153:154], v[16:17], s[16:17], v[8:9]
	v_fma_f64 v[8:9], v[16:17], s[14:15], v[8:9]
	v_add_f64 v[10:11], v[10:11], v[167:168]
	v_fma_f64 v[6:7], v[6:7], -0.5, v[110:111]
	v_fma_f64 v[153:154], v[179:180], s[12:13], v[153:154]
	v_fma_f64 v[8:9], v[179:180], s[18:19], v[8:9]
	v_add_f64 v[10:11], v[10:11], v[171:172]
	v_fma_f64 v[167:168], v[183:184], s[16:17], v[6:7]
	v_fma_f64 v[6:7], v[183:184], s[14:15], v[6:7]
	;; [unrolled: 1-line block ×4, first 2 shown]
	v_add_f64 v[8:9], v[108:109], v[161:162]
	v_add_f64 v[4:5], v[165:166], v[169:170]
	v_add_f64 v[161:162], v[161:162], -v[165:166]
	v_add_f64 v[110:111], v[10:11], v[175:176]
	v_fma_f64 v[6:7], v[181:182], s[12:13], v[6:7]
	v_add_f64 v[8:9], v[8:9], v[165:166]
	v_fma_f64 v[4:5], v[4:5], -0.5, v[108:109]
	v_add_f64 v[165:166], v[173:174], -v[169:170]
	v_add_f64 v[8:9], v[8:9], v[169:170]
	v_fma_f64 v[10:11], v[179:180], s[14:15], v[4:5]
	v_fma_f64 v[4:5], v[179:180], s[16:17], v[4:5]
	v_add_f64 v[165:166], v[161:162], v[165:166]
	v_add_f64 v[108:109], v[8:9], v[173:174]
	v_add_f64 v[8:9], v[175:176], -v[171:172]
	v_fma_f64 v[10:11], v[16:17], s[12:13], v[10:11]
	v_fma_f64 v[4:5], v[16:17], s[18:19], v[4:5]
	;; [unrolled: 1-line block ×3, first 2 shown]
	v_add_f64 v[8:9], v[163:164], v[8:9]
	v_fma_f64 v[161:162], v[165:166], s[0:1], v[10:11]
	v_add_f64 v[10:11], v[127:128], v[22:23]
	v_fma_f64 v[165:166], v[165:166], s[0:1], v[4:5]
	;; [unrolled: 2-line block ×3, first 2 shown]
	v_fma_f64 v[167:168], v[8:9], s[0:1], v[6:7]
	v_add_f64 v[8:9], v[125:126], v[20:21]
	v_add_f64 v[10:11], v[10:11], v[26:27]
	;; [unrolled: 1-line block ×3, first 2 shown]
	v_fma_f64 v[4:5], v[4:5], -0.5, v[125:126]
	v_add_f64 v[16:17], v[20:21], -v[24:25]
	v_add_f64 v[20:21], v[22:23], -v[26:27]
	;; [unrolled: 1-line block ×3, first 2 shown]
	ds_write_b128 v0, v[108:111]
	ds_write_b128 v0, v[161:164] offset:160
	ds_write_b128 v0, v[153:156] offset:320
	ds_write_b128 v0, v[157:160] offset:480
	ds_write_b128 v0, v[165:168] offset:640
	v_add_f64 v[8:9], v[8:9], v[24:25]
	v_add_f64 v[10:11], v[10:11], v[30:31]
	v_fma_f64 v[6:7], v[6:7], -0.5, v[127:128]
	v_add_f64 v[16:17], v[16:17], v[22:23]
	v_add_f64 v[8:9], v[8:9], v[28:29]
	;; [unrolled: 1-line block ×3, first 2 shown]
	v_fma_f64 v[10:11], v[14:15], s[14:15], v[4:5]
	v_fma_f64 v[4:5], v[14:15], s[16:17], v[4:5]
	;; [unrolled: 1-line block ×4, first 2 shown]
	s_mov_b32 s15, 0xbfebb67a
	v_add_f64 v[125:126], v[8:9], v[82:83]
	v_add_f64 v[8:9], v[129:130], -v[30:31]
	v_fma_f64 v[10:11], v[12:13], s[12:13], v[10:11]
	v_fma_f64 v[4:5], v[12:13], s[18:19], v[4:5]
	;; [unrolled: 1-line block ×4, first 2 shown]
	s_mov_b32 s12, 0xe8584caa
	s_mov_b32 s13, 0x3febb67a
	;; [unrolled: 1-line block ×3, first 2 shown]
	v_add_f64 v[8:9], v[20:21], v[8:9]
	v_fma_f64 v[169:170], v[16:17], s[0:1], v[10:11]
	v_fma_f64 v[173:174], v[16:17], s[0:1], v[4:5]
	v_mov_b32_e32 v4, 50
	v_mul_u32_u24_sdwa v2, v2, v4 dst_sel:DWORD dst_unused:UNUSED_PAD src0_sel:WORD_0 src1_sel:DWORD
	v_add_nc_u32_sdwa v2, v2, v3 dst_sel:DWORD dst_unused:UNUSED_PAD src0_sel:DWORD src1_sel:BYTE_0
	v_lshl_add_u32 v251, v2, 4, v252
	v_mul_u32_u24_sdwa v2, v80, v4 dst_sel:DWORD dst_unused:UNUSED_PAD src0_sel:WORD_0 src1_sel:DWORD
	ds_write_b128 v251, v[104:107]
	ds_write_b128 v251, v[120:123] offset:160
	ds_write_b128 v251, v[137:140] offset:320
	;; [unrolled: 1-line block ×4, first 2 shown]
	v_fma_f64 v[171:172], v[8:9], s[0:1], v[12:13]
	v_fma_f64 v[175:176], v[8:9], s[0:1], v[6:7]
	v_add_nc_u32_sdwa v2, v2, v81 dst_sel:DWORD dst_unused:UNUSED_PAD src0_sel:DWORD src1_sel:BYTE_0
	v_lshlrev_b32_e32 v104, 5, v254
	v_add_co_u32 v10, s0, 0xffffffec, v254
	v_add_co_ci_u32_e64 v11, null, 0, -1, s0
	v_lshl_add_u32 v250, v2, 4, v252
	v_cmp_gt_u16_e64 s0, 20, v254
	ds_write_b128 v250, v[125:128]
	ds_write_b128 v250, v[169:172] offset:160
	ds_write_b128 v250, v[145:148] offset:320
	;; [unrolled: 1-line block ×4, first 2 shown]
	s_waitcnt lgkmcnt(0)
	s_barrier
	buffer_gl0_inv
	s_clause 0x1
	global_load_dwordx4 v[80:83], v104, s[4:5] offset:640
	global_load_dwordx4 v[120:123], v104, s[4:5] offset:656
	ds_read_b128 v[105:108], v255 offset:2400
	ds_read_b128 v[125:128], v255 offset:1920
	v_cndmask_b32_e64 v11, v11, v1, s0
	v_cndmask_b32_e64 v10, v10, v124, s0
	v_add_co_u32 v148, null, 0x78, v254
	v_lshlrev_b64 v[11:12], 5, v[10:11]
	v_add_co_u32 v11, s0, s4, v11
	v_add_co_ci_u32_e64 v12, s0, s5, v12, s0
	v_cmp_lt_u16_e64 s0, 19, v254
	s_waitcnt vmcnt(1) lgkmcnt(1)
	v_mul_f64 v[2:3], v[107:108], v[82:83]
	v_mul_f64 v[4:5], v[105:106], v[82:83]
	v_fma_f64 v[2:3], v[105:106], v[80:81], -v[2:3]
	v_fma_f64 v[4:5], v[107:108], v[80:81], v[4:5]
	ds_read_b128 v[105:108], v255 offset:4800
	ds_read_b128 v[133:136], v255 offset:5280
	s_clause 0x1
	global_load_dwordx4 v[164:167], v[11:12], off offset:640
	global_load_dwordx4 v[156:159], v[11:12], off offset:656
	s_waitcnt vmcnt(2) lgkmcnt(1)
	v_mul_f64 v[6:7], v[107:108], v[122:123]
	v_mul_f64 v[8:9], v[105:106], v[122:123]
	v_fma_f64 v[6:7], v[105:106], v[120:121], -v[6:7]
	v_fma_f64 v[8:9], v[107:108], v[120:121], v[8:9]
	ds_read_b128 v[105:108], v255 offset:2880
	ds_read_b128 v[137:140], v255 offset:3360
	s_clause 0x1
	global_load_dwordx4 v[168:171], v104, s[4:5] offset:960
	global_load_dwordx4 v[160:163], v104, s[4:5] offset:976
	s_waitcnt vmcnt(3) lgkmcnt(1)
	v_mul_f64 v[11:12], v[107:108], v[166:167]
	v_mul_f64 v[13:14], v[105:106], v[166:167]
	s_waitcnt vmcnt(2)
	v_mul_f64 v[15:16], v[135:136], v[158:159]
	v_mul_f64 v[17:18], v[133:134], v[158:159]
	v_fma_f64 v[11:12], v[105:106], v[164:165], -v[11:12]
	v_fma_f64 v[13:14], v[107:108], v[164:165], v[13:14]
	v_fma_f64 v[15:16], v[133:134], v[156:157], -v[15:16]
	v_fma_f64 v[17:18], v[135:136], v[156:157], v[17:18]
	ds_read_b128 v[105:108], v255 offset:5760
	ds_read_b128 v[133:136], v255 offset:6240
	s_waitcnt vmcnt(1) lgkmcnt(2)
	v_mul_f64 v[21:22], v[137:138], v[170:171]
	v_mul_f64 v[19:20], v[139:140], v[170:171]
	s_waitcnt vmcnt(0) lgkmcnt(1)
	v_mul_f64 v[23:24], v[107:108], v[162:163]
	v_mul_f64 v[25:26], v[105:106], v[162:163]
	v_fma_f64 v[21:22], v[139:140], v[168:169], v[21:22]
	v_add_co_u32 v140, null, 0x5a, v254
	v_fma_f64 v[23:24], v[105:106], v[160:161], -v[23:24]
	v_fma_f64 v[25:26], v[107:108], v[160:161], v[25:26]
	v_fma_f64 v[19:20], v[137:138], v[168:169], -v[19:20]
	v_and_b32_e32 v1, 0xff, v140
	v_mul_lo_u16 v1, v1, 41
	v_lshrrev_b16 v31, 11, v1
	v_mul_lo_u16 v1, v31, 50
	v_sub_nc_u16 v32, v140, v1
	v_mov_b32_e32 v1, 5
	v_lshlrev_b32_sdwa v1, v1, v32 dst_sel:DWORD dst_unused:UNUSED_PAD src0_sel:DWORD src1_sel:BYTE_0
	s_clause 0x1
	global_load_dwordx4 v[176:179], v1, s[4:5] offset:640
	global_load_dwordx4 v[172:175], v1, s[4:5] offset:656
	v_and_b32_e32 v1, 0xff, v148
	ds_read_b128 v[105:108], v255 offset:3840
	ds_read_b128 v[141:144], v255 offset:4320
	v_mul_lo_u16 v1, v1, 41
	v_lshrrev_b16 v1, 11, v1
	v_mul_lo_u16 v1, v1, 50
	v_sub_nc_u16 v1, v148, v1
	v_and_b32_e32 v34, 0xff, v1
	v_lshlrev_b32_e32 v1, 5, v34
	s_clause 0x1
	global_load_dwordx4 v[184:187], v1, s[4:5] offset:640
	global_load_dwordx4 v[180:183], v1, s[4:5] offset:656
	s_waitcnt vmcnt(3) lgkmcnt(1)
	v_mul_f64 v[27:28], v[107:108], v[178:179]
	v_mul_f64 v[29:30], v[105:106], v[178:179]
	v_fma_f64 v[27:28], v[105:106], v[176:177], -v[27:28]
	s_waitcnt vmcnt(2)
	v_mul_f64 v[105:106], v[135:136], v[174:175]
	v_fma_f64 v[29:30], v[107:108], v[176:177], v[29:30]
	v_fma_f64 v[109:110], v[133:134], v[172:173], -v[105:106]
	v_mul_f64 v[105:106], v[133:134], v[174:175]
	v_fma_f64 v[129:130], v[135:136], v[172:173], v[105:106]
	s_waitcnt vmcnt(1) lgkmcnt(0)
	v_mul_f64 v[105:106], v[143:144], v[186:187]
	v_fma_f64 v[137:138], v[141:142], v[184:185], -v[105:106]
	v_mul_f64 v[105:106], v[141:142], v[186:187]
	v_add_f64 v[141:142], v[2:3], v[6:7]
	v_fma_f64 v[145:146], v[143:144], v[184:185], v[105:106]
	ds_read_b128 v[105:108], v255 offset:6720
	s_waitcnt vmcnt(0) lgkmcnt(0)
	v_mul_f64 v[133:134], v[107:108], v[182:183]
	v_fma_f64 v[153:154], v[105:106], v[180:181], -v[133:134]
	v_mul_f64 v[105:106], v[105:106], v[182:183]
	v_fma_f64 v[220:221], v[107:108], v[180:181], v[105:106]
	ds_read_b128 v[105:108], v255
	ds_read_b128 v[133:136], v255 offset:480
	ds_read_b128 v[196:199], v255 offset:960
	;; [unrolled: 1-line block ×3, first 2 shown]
	s_waitcnt lgkmcnt(0)
	s_barrier
	buffer_gl0_inv
	v_fma_f64 v[143:144], v[141:142], -0.5, v[105:106]
	v_add_f64 v[141:142], v[4:5], v[8:9]
	v_add_f64 v[105:106], v[105:106], v[2:3]
	v_add_f64 v[1:2], v[2:3], -v[6:7]
	v_fma_f64 v[151:152], v[141:142], -0.5, v[107:108]
	v_add_f64 v[107:108], v[107:108], v[4:5]
	v_add_f64 v[4:5], v[4:5], -v[8:9]
	v_add_f64 v[105:106], v[105:106], v[6:7]
	v_add_f64 v[107:108], v[107:108], v[8:9]
	v_fma_f64 v[141:142], v[4:5], s[12:13], v[143:144]
	v_fma_f64 v[149:150], v[4:5], s[14:15], v[143:144]
	;; [unrolled: 1-line block ×4, first 2 shown]
	v_add_f64 v[1:2], v[11:12], v[15:16]
	v_add_f64 v[3:4], v[13:14], v[17:18]
	v_add_f64 v[5:6], v[135:136], v[13:14]
	v_add_f64 v[13:14], v[13:14], -v[17:18]
	v_add_f64 v[7:8], v[133:134], v[11:12]
	ds_write_b128 v255, v[105:108]
	ds_write_b128 v255, v[141:144] offset:800
	ds_write_b128 v255, v[149:152] offset:1600
	v_lshlrev_b32_e32 v9, 5, v124
	v_fma_f64 v[1:2], v[1:2], -0.5, v[133:134]
	v_fma_f64 v[3:4], v[3:4], -0.5, v[135:136]
	v_add_f64 v[135:136], v[5:6], v[17:18]
	v_add_f64 v[5:6], v[11:12], -v[15:16]
	v_add_f64 v[11:12], v[21:22], -v[25:26]
	v_add_f64 v[133:134], v[7:8], v[15:16]
	v_add_f64 v[7:8], v[196:197], v[19:20]
	v_lshlrev_b32_e32 v17, 5, v132
	v_fma_f64 v[188:189], v[13:14], s[12:13], v[1:2]
	v_fma_f64 v[192:193], v[13:14], s[14:15], v[1:2]
	v_add_f64 v[1:2], v[19:20], v[23:24]
	v_fma_f64 v[190:191], v[5:6], s[14:15], v[3:4]
	v_fma_f64 v[194:195], v[5:6], s[12:13], v[3:4]
	v_add_f64 v[3:4], v[21:22], v[25:26]
	v_add_f64 v[5:6], v[198:199], v[21:22]
	v_fma_f64 v[1:2], v[1:2], -0.5, v[196:197]
	v_add_f64 v[196:197], v[7:8], v[23:24]
	v_add_f64 v[7:8], v[200:201], v[27:28]
	v_fma_f64 v[3:4], v[3:4], -0.5, v[198:199]
	v_add_f64 v[198:199], v[5:6], v[25:26]
	v_add_f64 v[5:6], v[19:20], -v[23:24]
	v_lshlrev_b32_e32 v25, 5, v140
	v_fma_f64 v[204:205], v[11:12], s[12:13], v[1:2]
	v_fma_f64 v[208:209], v[11:12], s[14:15], v[1:2]
	v_add_f64 v[1:2], v[27:28], v[109:110]
	v_add_f64 v[11:12], v[29:30], -v[129:130]
	v_fma_f64 v[206:207], v[5:6], s[14:15], v[3:4]
	v_fma_f64 v[210:211], v[5:6], s[12:13], v[3:4]
	v_add_f64 v[3:4], v[29:30], v[129:130]
	v_add_f64 v[5:6], v[202:203], v[29:30]
	v_lshlrev_b32_e32 v29, 5, v148
	v_fma_f64 v[1:2], v[1:2], -0.5, v[200:201]
	v_add_f64 v[200:201], v[7:8], v[109:110]
	v_add_f64 v[7:8], v[125:126], v[137:138]
	v_fma_f64 v[3:4], v[3:4], -0.5, v[202:203]
	v_add_f64 v[202:203], v[5:6], v[129:130]
	v_add_f64 v[5:6], v[27:28], -v[109:110]
	v_fma_f64 v[212:213], v[11:12], s[12:13], v[1:2]
	v_fma_f64 v[216:217], v[11:12], s[14:15], v[1:2]
	v_add_f64 v[1:2], v[137:138], v[153:154]
	v_add_f64 v[11:12], v[145:146], -v[220:221]
	v_fma_f64 v[214:215], v[5:6], s[14:15], v[3:4]
	v_fma_f64 v[218:219], v[5:6], s[12:13], v[3:4]
	v_add_f64 v[3:4], v[145:146], v[220:221]
	v_add_f64 v[5:6], v[127:128], v[145:146]
	v_fma_f64 v[1:2], v[1:2], -0.5, v[125:126]
	v_add_f64 v[125:126], v[7:8], v[153:154]
	v_fma_f64 v[3:4], v[3:4], -0.5, v[127:128]
	v_add_f64 v[127:128], v[5:6], v[220:221]
	v_add_f64 v[5:6], v[137:138], -v[153:154]
	v_fma_f64 v[220:221], v[11:12], s[12:13], v[1:2]
	v_fma_f64 v[224:225], v[11:12], s[14:15], v[1:2]
	v_cndmask_b32_e64 v1, 0, 0x96, s0
	v_add_nc_u32_e32 v1, v10, v1
	v_fma_f64 v[226:227], v[5:6], s[12:13], v[3:4]
	v_fma_f64 v[222:223], v[5:6], s[14:15], v[3:4]
	v_add_co_u32 v3, s0, s4, v104
	v_lshl_add_u32 v33, v1, 4, v252
	v_mov_b32_e32 v1, 0x96
	ds_write_b128 v33, v[133:136]
	ds_write_b128 v33, v[188:191] offset:800
	ds_write_b128 v33, v[192:195] offset:1600
	;; [unrolled: 1-line block ×5, first 2 shown]
	v_mul_u32_u24_sdwa v1, v31, v1 dst_sel:DWORD dst_unused:UNUSED_PAD src0_sel:WORD_0 src1_sel:DWORD
	v_add_co_ci_u32_e64 v4, null, s5, 0, s0
	v_add_nc_u32_sdwa v1, v1, v32 dst_sel:DWORD dst_unused:UNUSED_PAD src0_sel:DWORD src1_sel:BYTE_0
	v_lshl_add_u32 v1, v1, 4, v252
	ds_write_b128 v1, v[200:203]
	ds_write_b128 v1, v[212:215] offset:800
	buffer_store_dword v1, off, s[24:27], 0 offset:180 ; 4-byte Folded Spill
	ds_write_b128 v1, v[216:219] offset:1600
	v_lshl_add_u32 v1, v34, 4, v252
	ds_write_b128 v1, v[125:128] offset:4800
	ds_write_b128 v1, v[220:223] offset:5600
	buffer_store_dword v1, off, s[24:27], 0 offset:176 ; 4-byte Folded Spill
	ds_write_b128 v1, v[224:227] offset:6400
	v_add_co_u32 v1, s0, 0x800, v3
	v_add_co_ci_u32_e64 v2, s0, 0, v4, s0
	v_add_co_u32 v3, s0, 0x8c0, v3
	v_add_co_ci_u32_e64 v4, s0, 0, v4, s0
	s_waitcnt lgkmcnt(0)
	s_waitcnt_vscnt null, 0x0
	s_barrier
	buffer_gl0_inv
	s_clause 0x1
	global_load_dwordx4 v[108:111], v[1:2], off offset:192
	global_load_dwordx4 v[104:107], v[3:4], off offset:16
	ds_read_b128 v[125:128], v255 offset:2400
	ds_read_b128 v[192:195], v255 offset:1920
	v_add_co_u32 v11, s0, s4, v9
	v_add_co_ci_u32_e64 v12, null, s5, 0, s0
	v_add_co_u32 v9, s0, 0x800, v11
	v_add_co_ci_u32_e64 v10, s0, 0, v12, s0
	v_add_co_u32 v11, s0, 0x8c0, v11
	v_add_co_ci_u32_e64 v12, s0, 0, v12, s0
	v_add_co_u32 v19, s0, s4, v17
	v_add_co_ci_u32_e64 v20, null, s5, 0, s0
	v_add_co_u32 v17, s0, 0x800, v19
	v_add_co_ci_u32_e64 v18, s0, 0, v20, s0
	v_add_co_u32 v19, s0, 0x8c0, v19
	v_add_co_ci_u32_e64 v20, s0, 0, v20, s0
	;; [unrolled: 6-line block ×3, first 2 shown]
	v_add_co_u32 v29, s0, s4, v29
	v_add_co_ci_u32_e64 v30, null, s5, 0, s0
	v_add_co_u32 v148, s0, 0x800, v29
	s_waitcnt vmcnt(1) lgkmcnt(1)
	v_mul_f64 v[1:2], v[127:128], v[110:111]
	v_mul_f64 v[3:4], v[125:126], v[110:111]
	v_fma_f64 v[1:2], v[125:126], v[108:109], -v[1:2]
	v_fma_f64 v[3:4], v[127:128], v[108:109], v[3:4]
	ds_read_b128 v[125:128], v255 offset:4800
	ds_read_b128 v[133:136], v255 offset:5280
	s_waitcnt vmcnt(0) lgkmcnt(1)
	v_mul_f64 v[5:6], v[127:128], v[106:107]
	v_mul_f64 v[7:8], v[125:126], v[106:107]
	v_fma_f64 v[5:6], v[125:126], v[104:105], -v[5:6]
	v_fma_f64 v[7:8], v[127:128], v[104:105], v[7:8]
	s_clause 0x1
	global_load_dwordx4 v[128:131], v[9:10], off offset:192
	global_load_dwordx4 v[124:127], v[11:12], off offset:16
	ds_read_b128 v[141:144], v255 offset:2880
	ds_read_b128 v[149:152], v255 offset:3360
	v_add_f64 v[34:35], v[1:2], v[5:6]
	v_add_f64 v[208:209], v[3:4], v[7:8]
	s_waitcnt vmcnt(1) lgkmcnt(1)
	v_mul_f64 v[9:10], v[143:144], v[130:131]
	s_waitcnt vmcnt(0)
	v_mul_f64 v[13:14], v[135:136], v[126:127]
	v_mul_f64 v[15:16], v[133:134], v[126:127]
	;; [unrolled: 1-line block ×3, first 2 shown]
	v_fma_f64 v[9:10], v[141:142], v[128:129], -v[9:10]
	v_fma_f64 v[13:14], v[133:134], v[124:125], -v[13:14]
	v_fma_f64 v[15:16], v[135:136], v[124:125], v[15:16]
	s_clause 0x1
	global_load_dwordx4 v[136:139], v[17:18], off offset:192
	global_load_dwordx4 v[132:135], v[19:20], off offset:16
	v_fma_f64 v[11:12], v[143:144], v[128:129], v[11:12]
	s_waitcnt vmcnt(1) lgkmcnt(0)
	v_mul_f64 v[17:18], v[151:152], v[138:139]
	v_mul_f64 v[19:20], v[149:150], v[138:139]
	v_fma_f64 v[17:18], v[149:150], v[136:137], -v[17:18]
	v_fma_f64 v[19:20], v[151:152], v[136:137], v[19:20]
	ds_read_b128 v[141:144], v255 offset:5760
	ds_read_b128 v[149:152], v255 offset:6240
	s_waitcnt vmcnt(0) lgkmcnt(1)
	v_mul_f64 v[21:22], v[143:144], v[134:135]
	v_mul_f64 v[23:24], v[141:142], v[134:135]
	v_fma_f64 v[21:22], v[141:142], v[132:133], -v[21:22]
	v_fma_f64 v[23:24], v[143:144], v[132:133], v[23:24]
	s_clause 0x1
	global_load_dwordx4 v[144:147], v[25:26], off offset:192
	global_load_dwordx4 v[140:143], v[27:28], off offset:16
	ds_read_b128 v[188:191], v255 offset:3840
	ds_read_b128 v[196:199], v255 offset:4320
	s_waitcnt vmcnt(1) lgkmcnt(1)
	v_mul_f64 v[25:26], v[190:191], v[146:147]
	s_waitcnt vmcnt(0)
	v_mul_f64 v[153:154], v[151:152], v[142:143]
	v_mul_f64 v[27:28], v[188:189], v[146:147]
	v_fma_f64 v[25:26], v[188:189], v[144:145], -v[25:26]
	v_fma_f64 v[200:201], v[149:150], v[140:141], -v[153:154]
	v_mul_f64 v[149:150], v[149:150], v[142:143]
	v_fma_f64 v[27:28], v[190:191], v[144:145], v[27:28]
	v_fma_f64 v[202:203], v[151:152], v[140:141], v[149:150]
	v_add_co_ci_u32_e64 v149, s0, 0, v30, s0
	v_add_co_u32 v150, s0, 0x8c0, v29
	v_add_co_ci_u32_e64 v151, s0, 0, v30, s0
	s_clause 0x1
	global_load_dwordx4 v[152:155], v[148:149], off offset:192
	global_load_dwordx4 v[148:151], v[150:151], off offset:16
	s_waitcnt vmcnt(1) lgkmcnt(0)
	v_mul_f64 v[188:189], v[198:199], v[154:155]
	v_fma_f64 v[204:205], v[196:197], v[152:153], -v[188:189]
	v_mul_f64 v[188:189], v[196:197], v[154:155]
	v_fma_f64 v[206:207], v[198:199], v[152:153], v[188:189]
	ds_read_b128 v[188:191], v255 offset:6720
	s_waitcnt vmcnt(0) lgkmcnt(0)
	v_mul_f64 v[196:197], v[190:191], v[150:151]
	v_fma_f64 v[29:30], v[188:189], v[148:149], -v[196:197]
	v_mul_f64 v[188:189], v[188:189], v[150:151]
	v_fma_f64 v[31:32], v[190:191], v[148:149], v[188:189]
	ds_read_b128 v[188:191], v255
	ds_read_b128 v[196:199], v255 offset:480
	s_waitcnt lgkmcnt(1)
	v_fma_f64 v[34:35], v[34:35], -0.5, v[188:189]
	v_fma_f64 v[218:219], v[208:209], -0.5, v[190:191]
	v_add_f64 v[190:191], v[190:191], v[3:4]
	v_add_f64 v[188:189], v[188:189], v[1:2]
	v_add_f64 v[3:4], v[3:4], -v[7:8]
	v_add_f64 v[1:2], v[1:2], -v[5:6]
	v_add_f64 v[210:211], v[190:191], v[7:8]
	v_add_f64 v[208:209], v[188:189], v[5:6]
	v_fma_f64 v[212:213], v[3:4], s[12:13], v[34:35]
	v_fma_f64 v[216:217], v[3:4], s[14:15], v[34:35]
	;; [unrolled: 1-line block ×4, first 2 shown]
	v_add_f64 v[1:2], v[9:10], v[13:14]
	v_add_f64 v[3:4], v[11:12], v[15:16]
	s_waitcnt lgkmcnt(0)
	v_add_f64 v[5:6], v[198:199], v[11:12]
	v_add_f64 v[11:12], v[11:12], -v[15:16]
	v_add_f64 v[7:8], v[196:197], v[9:10]
	v_fma_f64 v[1:2], v[1:2], -0.5, v[196:197]
	v_fma_f64 v[3:4], v[3:4], -0.5, v[198:199]
	v_add_f64 v[222:223], v[5:6], v[15:16]
	v_add_f64 v[5:6], v[9:10], -v[13:14]
	ds_read_b128 v[188:191], v255 offset:960
	ds_read_b128 v[196:199], v255 offset:1440
	v_add_f64 v[9:10], v[19:20], -v[23:24]
	v_add_f64 v[220:221], v[7:8], v[13:14]
	buffer_store_dword v252, off, s[24:27], 0 offset:184 ; 4-byte Folded Spill
	v_lshl_add_u32 v252, v254, 4, v252
	ds_write_b128 v255, v[208:211]
	v_fma_f64 v[224:225], v[11:12], s[12:13], v[1:2]
	v_fma_f64 v[228:229], v[11:12], s[14:15], v[1:2]
	v_add_f64 v[1:2], v[17:18], v[21:22]
	v_fma_f64 v[226:227], v[5:6], s[14:15], v[3:4]
	v_fma_f64 v[230:231], v[5:6], s[12:13], v[3:4]
	v_add_f64 v[3:4], v[19:20], v[23:24]
	s_waitcnt lgkmcnt(2)
	v_add_f64 v[5:6], v[190:191], v[19:20]
	v_add_f64 v[7:8], v[188:189], v[17:18]
	v_fma_f64 v[1:2], v[1:2], -0.5, v[188:189]
	v_fma_f64 v[3:4], v[3:4], -0.5, v[190:191]
	v_add_f64 v[234:235], v[5:6], v[23:24]
	v_add_f64 v[5:6], v[17:18], -v[21:22]
	v_add_f64 v[232:233], v[7:8], v[21:22]
	s_waitcnt lgkmcnt(1)
	v_add_f64 v[7:8], v[196:197], v[25:26]
	v_fma_f64 v[236:237], v[9:10], s[12:13], v[1:2]
	v_fma_f64 v[240:241], v[9:10], s[14:15], v[1:2]
	v_add_f64 v[1:2], v[25:26], v[200:201]
	v_add_f64 v[9:10], v[27:28], -v[202:203]
	v_fma_f64 v[238:239], v[5:6], s[14:15], v[3:4]
	v_fma_f64 v[242:243], v[5:6], s[12:13], v[3:4]
	v_add_f64 v[3:4], v[27:28], v[202:203]
	v_add_f64 v[5:6], v[198:199], v[27:28]
	;; [unrolled: 1-line block ×4, first 2 shown]
	v_fma_f64 v[1:2], v[1:2], -0.5, v[196:197]
	v_fma_f64 v[3:4], v[3:4], -0.5, v[198:199]
	v_add_f64 v[246:247], v[5:6], v[202:203]
	v_add_f64 v[5:6], v[25:26], -v[200:201]
	ds_write_b128 v252, v[220:223] offset:480
	ds_write_b128 v252, v[232:235] offset:960
	;; [unrolled: 1-line block ×9, first 2 shown]
	v_fma_f64 v[188:189], v[9:10], s[12:13], v[1:2]
	v_fma_f64 v[196:197], v[9:10], s[14:15], v[1:2]
	v_add_f64 v[1:2], v[204:205], v[29:30]
	v_add_f64 v[9:10], v[206:207], -v[31:32]
	v_fma_f64 v[190:191], v[5:6], s[14:15], v[3:4]
	v_fma_f64 v[198:199], v[5:6], s[12:13], v[3:4]
	v_add_f64 v[3:4], v[206:207], v[31:32]
	v_add_f64 v[5:6], v[194:195], v[206:207]
	v_fma_f64 v[1:2], v[1:2], -0.5, v[192:193]
	v_add_f64 v[192:193], v[7:8], v[29:30]
	v_fma_f64 v[3:4], v[3:4], -0.5, v[194:195]
	v_add_f64 v[194:195], v[5:6], v[31:32]
	v_add_f64 v[5:6], v[204:205], -v[29:30]
	v_fma_f64 v[204:205], v[9:10], s[12:13], v[1:2]
	v_fma_f64 v[200:201], v[9:10], s[14:15], v[1:2]
	v_lshlrev_b32_e32 v1, 4, v254
	v_add_co_u32 v9, s0, s6, v1
	v_fma_f64 v[206:207], v[5:6], s[14:15], v[3:4]
	v_fma_f64 v[202:203], v[5:6], s[12:13], v[3:4]
	v_add_co_ci_u32_e64 v10, null, s7, 0, s0
	v_add_co_u32 v1, s0, 0x1800, v9
	ds_write_b128 v252, v[188:191] offset:3840
	ds_write_b128 v252, v[196:199] offset:6240
	;; [unrolled: 1-line block ×5, first 2 shown]
	v_add_co_ci_u32_e64 v2, s0, 0, v10, s0
	s_waitcnt lgkmcnt(0)
	s_waitcnt_vscnt null, 0x0
	s_barrier
	buffer_gl0_inv
	global_load_dwordx4 v[208:211], v[1:2], off offset:1056
	ds_read_b128 v[212:215], v255
	ds_read_b128 v[216:219], v255 offset:720
	v_add_co_u32 v3, s0, 0x2000, v9
	v_add_co_ci_u32_e64 v4, s0, 0, v10, s0
	global_load_dwordx4 v[220:223], v[3:4], off offset:1168
	s_waitcnt vmcnt(1) lgkmcnt(1)
	v_mul_f64 v[1:2], v[214:215], v[210:211]
	v_mul_f64 v[5:6], v[212:213], v[210:211]
	v_fma_f64 v[210:211], v[212:213], v[208:209], -v[1:2]
	v_fma_f64 v[212:213], v[214:215], v[208:209], v[5:6]
	v_add_co_u32 v208, s0, 0x1c20, v9
	v_add_co_ci_u32_e64 v209, s0, 0, v10, s0
	s_clause 0x1
	global_load_dwordx4 v[224:227], v[208:209], off offset:720
	global_load_dwordx4 v[228:231], v[208:209], off offset:1440
	s_waitcnt vmcnt(1) lgkmcnt(0)
	v_mul_f64 v[1:2], v[218:219], v[226:227]
	v_mul_f64 v[5:6], v[216:217], v[226:227]
	v_fma_f64 v[214:215], v[216:217], v[224:225], -v[1:2]
	v_fma_f64 v[216:217], v[218:219], v[224:225], v[5:6]
	ds_read_b128 v[224:227], v255 offset:1440
	ds_read_b128 v[232:235], v255 offset:2160
	s_waitcnt vmcnt(0) lgkmcnt(1)
	v_mul_f64 v[1:2], v[226:227], v[230:231]
	v_mul_f64 v[5:6], v[224:225], v[230:231]
	v_fma_f64 v[224:225], v[224:225], v[228:229], -v[1:2]
	s_waitcnt lgkmcnt(0)
	v_mul_f64 v[1:2], v[234:235], v[222:223]
	v_fma_f64 v[226:227], v[226:227], v[228:229], v[5:6]
	v_mul_f64 v[5:6], v[232:233], v[222:223]
	v_fma_f64 v[218:219], v[232:233], v[220:221], -v[1:2]
	v_add_co_u32 v1, s0, 0x2800, v9
	v_add_co_ci_u32_e64 v2, s0, 0, v10, s0
	v_fma_f64 v[220:221], v[234:235], v[220:221], v[5:6]
	s_clause 0x1
	global_load_dwordx4 v[228:231], v[3:4], off offset:1888
	global_load_dwordx4 v[232:235], v[1:2], off offset:560
	ds_read_b128 v[236:239], v255 offset:2880
	ds_read_b128 v[240:243], v255 offset:3600
	s_waitcnt vmcnt(1) lgkmcnt(1)
	v_mul_f64 v[3:4], v[238:239], v[230:231]
	v_mul_f64 v[5:6], v[236:237], v[230:231]
	v_fma_f64 v[236:237], v[236:237], v[228:229], -v[3:4]
	v_fma_f64 v[238:239], v[238:239], v[228:229], v[5:6]
	s_waitcnt vmcnt(0) lgkmcnt(0)
	v_mul_f64 v[3:4], v[242:243], v[234:235]
	v_mul_f64 v[5:6], v[240:241], v[234:235]
	v_fma_f64 v[228:229], v[240:241], v[232:233], -v[3:4]
	v_fma_f64 v[230:231], v[242:243], v[232:233], v[5:6]
	s_clause 0x1
	global_load_dwordx4 v[232:235], v[1:2], off offset:1280
	global_load_dwordx4 v[240:243], v[1:2], off offset:2000
	ds_read_b128 v[244:247], v255 offset:4320
	ds_read_b128 v[1:4], v255 offset:5040
	s_waitcnt vmcnt(1) lgkmcnt(1)
	v_mul_f64 v[5:6], v[246:247], v[234:235]
	v_mul_f64 v[7:8], v[244:245], v[234:235]
	v_fma_f64 v[244:245], v[244:245], v[232:233], -v[5:6]
	s_waitcnt vmcnt(0) lgkmcnt(0)
	v_mul_f64 v[5:6], v[3:4], v[242:243]
	v_fma_f64 v[246:247], v[246:247], v[232:233], v[7:8]
	v_mul_f64 v[7:8], v[1:2], v[242:243]
	v_fma_f64 v[1:2], v[1:2], v[240:241], -v[5:6]
	v_add_co_u32 v5, s0, 0x3000, v9
	v_add_co_ci_u32_e64 v6, s0, 0, v10, s0
	v_fma_f64 v[3:4], v[3:4], v[240:241], v[7:8]
	s_clause 0x1
	global_load_dwordx4 v[232:235], v[5:6], off offset:672
	global_load_dwordx4 v[240:243], v[5:6], off offset:1392
	ds_read_b128 v[5:8], v255 offset:5760
	ds_read_b128 v[9:12], v255 offset:6480
	s_waitcnt vmcnt(1) lgkmcnt(1)
	v_mul_f64 v[13:14], v[7:8], v[234:235]
	v_mul_f64 v[15:16], v[5:6], v[234:235]
	v_fma_f64 v[5:6], v[5:6], v[232:233], -v[13:14]
	v_fma_f64 v[7:8], v[7:8], v[232:233], v[15:16]
	s_waitcnt vmcnt(0) lgkmcnt(0)
	v_mul_f64 v[13:14], v[11:12], v[242:243]
	v_mul_f64 v[15:16], v[9:10], v[242:243]
	v_fma_f64 v[9:10], v[9:10], v[240:241], -v[13:14]
	v_fma_f64 v[11:12], v[11:12], v[240:241], v[15:16]
	ds_write_b128 v255, v[210:213]
	ds_write_b128 v255, v[214:217] offset:720
	ds_write_b128 v255, v[224:227] offset:1440
	;; [unrolled: 1-line block ×9, first 2 shown]
	s_and_saveexec_b32 s1, vcc_lo
	s_cbranch_execz .LBB0_9
; %bb.8:
	s_clause 0x2
	global_load_dwordx4 v[1:4], v[208:209], off offset:480
	global_load_dwordx4 v[5:8], v[208:209], off offset:1200
	;; [unrolled: 1-line block ×3, first 2 shown]
	v_add_co_u32 v13, s0, 0x800, v208
	v_add_co_ci_u32_e64 v14, s0, 0, v209, s0
	s_clause 0x2
	global_load_dwordx4 v[210:213], v[13:14], off offset:592
	global_load_dwordx4 v[214:217], v[13:14], off offset:1312
	;; [unrolled: 1-line block ×3, first 2 shown]
	v_add_co_u32 v13, s0, 0x1000, v208
	v_add_co_ci_u32_e64 v14, s0, 0, v209, s0
	v_add_co_u32 v15, s0, 0x1800, v208
	v_add_co_ci_u32_e64 v16, s0, 0, v209, s0
	s_clause 0x3
	global_load_dwordx4 v[222:225], v[13:14], off offset:704
	global_load_dwordx4 v[226:229], v[13:14], off offset:1424
	;; [unrolled: 1-line block ×4, first 2 shown]
	ds_read_b128 v[238:241], v252 offset:480
	ds_read_b128 v[242:245], v252 offset:1200
	;; [unrolled: 1-line block ×5, first 2 shown]
	s_waitcnt vmcnt(9) lgkmcnt(4)
	v_mul_f64 v[25:26], v[240:241], v[3:4]
	v_mul_f64 v[3:4], v[238:239], v[3:4]
	s_waitcnt vmcnt(8) lgkmcnt(3)
	v_mul_f64 v[27:28], v[244:245], v[7:8]
	v_mul_f64 v[7:8], v[242:243], v[7:8]
	;; [unrolled: 3-line block ×3, first 2 shown]
	s_waitcnt vmcnt(6) lgkmcnt(1)
	v_mul_f64 v[31:32], v[17:18], v[212:213]
	s_waitcnt vmcnt(5) lgkmcnt(0)
	v_mul_f64 v[34:35], v[23:24], v[216:217]
	v_fma_f64 v[238:239], v[238:239], v[1:2], -v[25:26]
	v_fma_f64 v[240:241], v[240:241], v[1:2], v[3:4]
	ds_read_b128 v[1:4], v252 offset:4080
	v_mul_f64 v[25:26], v[19:20], v[212:213]
	v_mul_f64 v[212:213], v[21:22], v[216:217]
	v_fma_f64 v[242:243], v[242:243], v[5:6], -v[27:28]
	v_fma_f64 v[244:245], v[244:245], v[5:6], v[7:8]
	v_fma_f64 v[5:6], v[13:14], v[9:10], -v[29:30]
	v_fma_f64 v[7:8], v[15:16], v[9:10], v[11:12]
	ds_read_b128 v[9:12], v252 offset:4800
	ds_read_b128 v[13:16], v252 offset:5520
	v_fma_f64 v[19:20], v[19:20], v[210:211], v[31:32]
	v_fma_f64 v[21:22], v[21:22], v[214:215], -v[34:35]
	s_waitcnt vmcnt(4) lgkmcnt(2)
	v_mul_f64 v[29:30], v[3:4], v[220:221]
	v_mul_f64 v[216:217], v[1:2], v[220:221]
	v_fma_f64 v[17:18], v[17:18], v[210:211], -v[25:26]
	ds_read_b128 v[208:211], v252 offset:6240
	ds_read_b128 v[25:28], v252 offset:6960
	v_fma_f64 v[23:24], v[23:24], v[214:215], v[212:213]
	s_waitcnt vmcnt(3) lgkmcnt(3)
	v_mul_f64 v[31:32], v[11:12], v[224:225]
	v_mul_f64 v[34:35], v[9:10], v[224:225]
	s_waitcnt vmcnt(2) lgkmcnt(2)
	v_mul_f64 v[212:213], v[15:16], v[228:229]
	v_mul_f64 v[214:215], v[13:14], v[228:229]
	v_fma_f64 v[1:2], v[1:2], v[218:219], -v[29:30]
	v_fma_f64 v[3:4], v[3:4], v[218:219], v[216:217]
	s_waitcnt vmcnt(1) lgkmcnt(1)
	v_mul_f64 v[29:30], v[210:211], v[232:233]
	v_mul_f64 v[216:217], v[208:209], v[232:233]
	s_waitcnt vmcnt(0) lgkmcnt(0)
	v_mul_f64 v[218:219], v[27:28], v[236:237]
	v_mul_f64 v[220:221], v[25:26], v[236:237]
	v_fma_f64 v[9:10], v[9:10], v[222:223], -v[31:32]
	v_fma_f64 v[11:12], v[11:12], v[222:223], v[34:35]
	v_fma_f64 v[13:14], v[13:14], v[226:227], -v[212:213]
	v_fma_f64 v[15:16], v[15:16], v[226:227], v[214:215]
	;; [unrolled: 2-line block ×4, first 2 shown]
	ds_write_b128 v252, v[238:241] offset:480
	ds_write_b128 v252, v[242:245] offset:1200
	;; [unrolled: 1-line block ×10, first 2 shown]
.LBB0_9:
	s_or_b32 exec_lo, exec_lo, s1
	s_waitcnt lgkmcnt(0)
	s_barrier
	buffer_gl0_inv
	ds_read_b128 v[236:239], v255
	ds_read_b128 v[228:231], v255 offset:720
	ds_read_b128 v[240:243], v255 offset:1440
	ds_read_b128 v[224:227], v255 offset:2160
	ds_read_b128 v[244:247], v255 offset:2880
	ds_read_b128 v[220:223], v255 offset:3600
	ds_read_b128 v[232:235], v255 offset:4320
	ds_read_b128 v[216:219], v255 offset:5040
	ds_read_b128 v[212:215], v255 offset:5760
	ds_read_b128 v[208:211], v255 offset:6480
	s_and_saveexec_b32 s0, vcc_lo
	s_cbranch_execz .LBB0_11
; %bb.10:
	ds_read_b128 v[188:191], v252 offset:480
	ds_read_b128 v[196:199], v252 offset:1200
	;; [unrolled: 1-line block ×10, first 2 shown]
.LBB0_11:
	s_or_b32 exec_lo, exec_lo, s0
	s_waitcnt lgkmcnt(7)
	v_add_f64 v[1:2], v[236:237], v[240:241]
	v_add_f64 v[3:4], v[238:239], v[242:243]
	s_waitcnt lgkmcnt(3)
	v_add_f64 v[5:6], v[244:245], v[232:233]
	s_waitcnt lgkmcnt(1)
	v_add_f64 v[7:8], v[240:241], v[212:213]
	v_add_f64 v[9:10], v[246:247], v[234:235]
	;; [unrolled: 1-line block ×4, first 2 shown]
	s_waitcnt lgkmcnt(0)
	v_add_f64 v[21:22], v[224:225], v[208:209]
	v_add_f64 v[23:24], v[222:223], v[218:219]
	;; [unrolled: 1-line block ×3, first 2 shown]
	v_add_f64 v[13:14], v[242:243], -v[214:215]
	v_add_f64 v[15:16], v[246:247], -v[234:235]
	;; [unrolled: 1-line block ×9, first 2 shown]
	s_mov_b32 s0, 0x134454ff
	s_mov_b32 s1, 0xbfee6f0e
	;; [unrolled: 1-line block ×3, first 2 shown]
	v_add_f64 v[1:2], v[1:2], v[244:245]
	v_add_f64 v[3:4], v[3:4], v[246:247]
	v_add_f64 v[244:245], v[244:245], -v[232:233]
	v_add_f64 v[246:247], v[214:215], -v[234:235]
	v_fma_f64 v[5:6], v[5:6], -0.5, v[236:237]
	v_fma_f64 v[7:8], v[7:8], -0.5, v[236:237]
	;; [unrolled: 1-line block ×4, first 2 shown]
	v_add_f64 v[236:237], v[234:235], -v[214:215]
	v_add_f64 v[238:239], v[224:225], -v[220:221]
	v_fma_f64 v[19:20], v[19:20], -0.5, v[228:229]
	v_fma_f64 v[21:22], v[21:22], -0.5, v[228:229]
	;; [unrolled: 1-line block ×4, first 2 shown]
	s_mov_b32 s4, s0
	v_add_f64 v[17:18], v[17:18], v[27:28]
	v_add_f64 v[27:28], v[226:227], -v[222:223]
	s_mov_b32 s6, 0x4755a5e
	v_add_f64 v[29:30], v[29:30], v[242:243]
	v_add_f64 v[242:243], v[210:211], -v[218:219]
	s_mov_b32 s7, 0xbfe2cf23
	s_mov_b32 s13, 0x3fe2cf23
	v_add_f64 v[1:2], v[1:2], v[232:233]
	v_add_f64 v[3:4], v[3:4], v[234:235]
	v_add_f64 v[232:233], v[208:209], -v[216:217]
	v_add_f64 v[234:235], v[228:229], v[224:225]
	v_add_f64 v[228:229], v[230:231], v[226:227]
	v_add_f64 v[230:231], v[224:225], -v[208:209]
	v_add_f64 v[34:35], v[34:35], v[246:247]
	v_add_f64 v[246:247], v[220:221], -v[216:217]
	;; [unrolled: 2-line block ×3, first 2 shown]
	v_add_f64 v[224:225], v[220:221], -v[224:225]
	v_add_f64 v[226:227], v[222:223], -v[226:227]
	s_mov_b32 s12, s6
	s_mov_b32 s14, 0x372fe950
	;; [unrolled: 1-line block ×7, first 2 shown]
	v_add_f64 v[27:28], v[27:28], v[242:243]
	s_mov_b32 s21, 0xbfe9e377
	s_mov_b32 s20, s16
	v_add_f64 v[212:213], v[1:2], v[212:213]
	v_add_f64 v[232:233], v[238:239], v[232:233]
	v_add_f64 v[220:221], v[234:235], v[220:221]
	v_add_f64 v[234:235], v[218:219], -v[210:211]
	v_fma_f64 v[238:239], v[230:231], s[4:5], v[23:24]
	v_fma_f64 v[23:24], v[230:231], s[0:1], v[23:24]
	v_add_f64 v[228:229], v[228:229], v[222:223]
	v_add_f64 v[222:223], v[222:223], -v[218:219]
	v_fma_f64 v[242:243], v[246:247], s[0:1], v[25:26]
	v_fma_f64 v[25:26], v[246:247], s[4:5], v[25:26]
	s_barrier
	buffer_gl0_inv
	v_add_f64 v[226:227], v[226:227], v[234:235]
	v_fma_f64 v[238:239], v[246:247], s[12:13], v[238:239]
	v_fma_f64 v[23:24], v[246:247], s[6:7], v[23:24]
	;; [unrolled: 1-line block ×4, first 2 shown]
	v_add_f64 v[234:235], v[216:217], -v[208:209]
	v_fma_f64 v[242:243], v[230:231], s[12:13], v[242:243]
	v_fma_f64 v[25:26], v[230:231], s[6:7], v[25:26]
	;; [unrolled: 1-line block ×10, first 2 shown]
	v_add_f64 v[224:225], v[224:225], v[234:235]
	v_fma_f64 v[234:235], v[15:16], s[4:5], v[7:8]
	v_fma_f64 v[7:8], v[15:16], s[0:1], v[7:8]
	;; [unrolled: 1-line block ×9, first 2 shown]
	v_add_f64 v[27:28], v[220:221], v[216:217]
	v_add_f64 v[216:217], v[228:229], v[218:219]
	v_fma_f64 v[9:10], v[31:32], s[0:1], v[9:10]
	v_fma_f64 v[218:219], v[232:233], s[14:15], v[246:247]
	;; [unrolled: 1-line block ×9, first 2 shown]
	v_mul_f64 v[234:235], v[242:243], s[14:15]
	v_mul_f64 v[228:229], v[25:26], s[0:1]
	v_fma_f64 v[222:223], v[31:32], s[12:13], v[226:227]
	v_fma_f64 v[11:12], v[31:32], s[6:7], v[11:12]
	;; [unrolled: 1-line block ×3, first 2 shown]
	v_mul_f64 v[224:225], v[238:239], s[6:7]
	v_mul_f64 v[226:227], v[242:243], s[0:1]
	;; [unrolled: 1-line block ×3, first 2 shown]
	v_fma_f64 v[9:10], v[244:245], s[6:7], v[9:10]
	v_mul_f64 v[230:231], v[23:24], s[6:7]
	v_mul_f64 v[23:24], v[23:24], s[20:21]
	;; [unrolled: 1-line block ×3, first 2 shown]
	v_fma_f64 v[220:221], v[17:18], s[14:15], v[220:221]
	v_fma_f64 v[240:241], v[17:18], s[14:15], v[5:6]
	v_add_f64 v[5:6], v[27:28], v[208:209]
	v_fma_f64 v[242:243], v[29:30], s[14:15], v[15:16]
	v_fma_f64 v[29:30], v[29:30], s[14:15], v[7:8]
	v_add_f64 v[7:8], v[3:4], v[214:215]
	v_add_f64 v[27:28], v[216:217], v[210:211]
	v_fma_f64 v[244:245], v[34:35], s[14:15], v[13:14]
	v_fma_f64 v[222:223], v[236:237], s[14:15], v[222:223]
	;; [unrolled: 1-line block ×12, first 2 shown]
	v_add_f64 v[1:2], v[212:213], v[5:6]
	v_add_f64 v[5:6], v[212:213], -v[5:6]
	v_add_f64 v[3:4], v[7:8], v[27:28]
	v_add_f64 v[7:8], v[7:8], -v[27:28]
	v_add_f64 v[9:10], v[220:221], v[208:209]
	v_add_f64 v[13:14], v[242:243], v[210:211]
	;; [unrolled: 1-line block ×5, first 2 shown]
	v_add_f64 v[25:26], v[220:221], -v[208:209]
	v_add_f64 v[21:22], v[240:241], v[224:225]
	v_add_f64 v[11:12], v[244:245], v[226:227]
	;; [unrolled: 1-line block ×3, first 2 shown]
	v_add_f64 v[27:28], v[244:245], -v[226:227]
	v_add_f64 v[209:210], v[242:243], -v[210:211]
	;; [unrolled: 1-line block ×7, first 2 shown]
	v_add_nc_u32_e32 v208, 0x780, v255
	ds_write_b128 v253, v[1:4]
	ds_write_b128 v253, v[5:8] offset:80
	ds_write_b128 v253, v[9:12] offset:16
	;; [unrolled: 1-line block ×9, first 2 shown]
	s_and_saveexec_b32 s22, vcc_lo
	s_cbranch_execz .LBB0_13
; %bb.12:
	v_add_f64 v[1:2], v[198:199], v[206:207]
	v_add_f64 v[5:6], v[74:75], v[78:79]
	;; [unrolled: 1-line block ×8, first 2 shown]
	v_add_f64 v[21:22], v[204:205], -v[68:69]
	v_add_f64 v[23:24], v[206:207], -v[70:71]
	;; [unrolled: 1-line block ×3, first 2 shown]
	v_add_f64 v[29:30], v[188:189], v[192:193]
	v_add_f64 v[34:35], v[72:73], -v[204:205]
	v_add_f64 v[204:205], v[74:75], -v[206:207]
	v_add_f64 v[13:14], v[202:203], v[66:67]
	v_add_f64 v[15:16], v[194:195], v[62:63]
	v_add_f64 v[31:32], v[206:207], -v[74:75]
	v_add_f64 v[206:207], v[68:69], -v[76:77]
	v_add_f64 v[27:28], v[190:191], v[194:195]
	v_add_f64 v[209:210], v[192:193], -v[200:201]
	v_add_f64 v[1:2], v[1:2], v[74:75]
	v_fma_f64 v[5:6], v[5:6], -0.5, v[198:199]
	v_fma_f64 v[7:8], v[7:8], -0.5, v[198:199]
	;; [unrolled: 1-line block ×3, first 2 shown]
	v_add_f64 v[198:199], v[78:79], -v[70:71]
	v_fma_f64 v[17:18], v[17:18], -0.5, v[188:189]
	v_fma_f64 v[19:20], v[19:20], -0.5, v[188:189]
	v_add_f64 v[188:189], v[76:77], -v[68:69]
	v_add_f64 v[3:4], v[3:4], v[72:73]
	v_fma_f64 v[11:12], v[11:12], -0.5, v[196:197]
	v_add_f64 v[196:197], v[70:71], -v[78:79]
	v_add_f64 v[74:75], v[74:75], -v[78:79]
	v_add_f64 v[72:73], v[72:73], -v[76:77]
	v_add_f64 v[29:30], v[29:30], v[200:201]
	v_fma_f64 v[13:14], v[13:14], -0.5, v[190:191]
	v_fma_f64 v[15:16], v[15:16], -0.5, v[190:191]
	v_add_f64 v[190:191], v[194:195], -v[202:203]
	v_add_f64 v[25:26], v[25:26], v[206:207]
	v_add_f64 v[27:28], v[27:28], v[202:203]
	v_add_f64 v[206:207], v[64:65], -v[60:61]
	v_add_f64 v[1:2], v[1:2], v[78:79]
	v_add_f64 v[78:79], v[202:203], -v[194:195]
	v_add_f64 v[202:203], v[202:203], -v[66:67]
	;; [unrolled: 1-line block ×3, first 2 shown]
	v_add_f64 v[198:199], v[204:205], v[198:199]
	v_add_f64 v[204:205], v[66:67], -v[62:63]
	v_add_f64 v[34:35], v[34:35], v[188:189]
	v_fma_f64 v[188:189], v[23:24], s[0:1], v[9:10]
	v_add_f64 v[3:4], v[3:4], v[76:77]
	v_add_f64 v[76:77], v[192:193], -v[60:61]
	v_add_f64 v[192:193], v[200:201], -v[192:193]
	;; [unrolled: 1-line block ×3, first 2 shown]
	v_add_f64 v[31:32], v[31:32], v[196:197]
	v_add_f64 v[196:197], v[62:63], -v[66:67]
	v_fma_f64 v[9:10], v[23:24], s[4:5], v[9:10]
	v_add_f64 v[29:30], v[29:30], v[64:65]
	v_add_f64 v[27:28], v[27:28], v[66:67]
	;; [unrolled: 1-line block ×3, first 2 shown]
	v_fma_f64 v[204:205], v[21:22], s[0:1], v[5:6]
	v_fma_f64 v[5:6], v[21:22], s[4:5], v[5:6]
	;; [unrolled: 1-line block ×3, first 2 shown]
	v_add_f64 v[192:193], v[192:193], v[206:207]
	v_add_f64 v[190:191], v[190:191], v[196:197]
	v_fma_f64 v[196:197], v[72:73], s[4:5], v[7:8]
	v_fma_f64 v[7:8], v[72:73], s[0:1], v[7:8]
	;; [unrolled: 1-line block ×3, first 2 shown]
	v_add_f64 v[29:30], v[29:30], v[60:61]
	v_add_f64 v[27:28], v[27:28], v[62:63]
	;; [unrolled: 1-line block ×3, first 2 shown]
	v_fma_f64 v[204:205], v[72:73], s[6:7], v[204:205]
	v_fma_f64 v[5:6], v[72:73], s[12:13], v[5:6]
	;; [unrolled: 1-line block ×9, first 2 shown]
	v_add_f64 v[21:22], v[60:61], -v[64:65]
	v_add_f64 v[60:61], v[3:4], v[68:69]
	v_fma_f64 v[9:10], v[25:26], s[14:15], v[9:10]
	v_add_f64 v[3:4], v[27:28], -v[62:63]
	v_fma_f64 v[204:205], v[31:32], s[14:15], v[204:205]
	v_fma_f64 v[5:6], v[31:32], s[14:15], v[5:6]
	;; [unrolled: 1-line block ×5, first 2 shown]
	v_mul_f64 v[74:75], v[188:189], s[12:13]
	v_fma_f64 v[72:73], v[23:24], s[12:13], v[72:73]
	v_fma_f64 v[11:12], v[23:24], s[6:7], v[11:12]
	;; [unrolled: 1-line block ×7, first 2 shown]
	v_add_f64 v[1:2], v[29:30], -v[60:61]
	v_fma_f64 v[13:14], v[76:77], s[4:5], v[13:14]
	v_add_f64 v[21:22], v[209:210], v[21:22]
	v_fma_f64 v[15:16], v[76:77], s[12:13], v[15:16]
	v_fma_f64 v[31:32], v[194:195], s[12:13], v[31:32]
	;; [unrolled: 1-line block ×3, first 2 shown]
	v_mul_f64 v[194:195], v[5:6], s[6:7]
	v_fma_f64 v[74:75], v[5:6], s[16:17], v[74:75]
	v_add_f64 v[5:6], v[29:30], v[60:61]
	s_clause 0x1
	buffer_load_dword v29, off, s[24:27], 0 offset:184
	buffer_load_dword v30, off, s[24:27], 0 offset:188
	v_fma_f64 v[23:24], v[200:201], s[6:7], v[23:24]
	v_fma_f64 v[25:26], v[34:35], s[14:15], v[72:73]
	;; [unrolled: 1-line block ×3, first 2 shown]
	v_mul_f64 v[34:35], v[204:205], s[20:21]
	v_mul_f64 v[66:67], v[196:197], s[18:19]
	v_mul_f64 v[72:73], v[7:8], s[14:15]
	v_fma_f64 v[13:14], v[200:201], s[12:13], v[13:14]
	v_fma_f64 v[76:77], v[202:203], s[12:13], v[198:199]
	;; [unrolled: 1-line block ×3, first 2 shown]
	v_mul_f64 v[7:8], v[7:8], s[0:1]
	v_mul_f64 v[196:197], v[196:197], s[0:1]
	;; [unrolled: 1-line block ×3, first 2 shown]
	v_fma_f64 v[64:65], v[78:79], s[14:15], v[64:65]
	v_fma_f64 v[70:71], v[78:79], s[14:15], v[15:16]
	;; [unrolled: 1-line block ×15, first 2 shown]
	v_add_f64 v[7:8], v[27:28], v[62:63]
	v_add_f64 v[11:12], v[68:69], -v[34:35]
	v_add_f64 v[15:16], v[64:65], -v[66:67]
	v_add_f64 v[19:20], v[70:71], -v[72:73]
	v_add_f64 v[27:28], v[68:69], v[34:35]
	v_add_f64 v[62:63], v[64:65], v[66:67]
	;; [unrolled: 1-line block ×8, first 2 shown]
	v_add_f64 v[23:24], v[13:14], -v[74:75]
	v_add_f64 v[21:22], v[17:18], -v[21:22]
	;; [unrolled: 1-line block ×5, first 2 shown]
	s_waitcnt vmcnt(0)
	v_lshl_add_u32 v29, v30, 4, v29
	ds_write_b128 v29, v[5:8]
	ds_write_b128 v29, v[1:4] offset:80
	ds_write_b128 v29, v[68:71] offset:16
	;; [unrolled: 1-line block ×9, first 2 shown]
.LBB0_13:
	s_or_b32 exec_lo, exec_lo, s22
	s_waitcnt lgkmcnt(0)
	s_barrier
	buffer_gl0_inv
	ds_read_b128 v[60:63], v255 offset:1440
	ds_read_b128 v[1:4], v255 offset:960
	s_waitcnt lgkmcnt(1)
	v_mul_f64 v[5:6], v[102:103], v[62:63]
	v_fma_f64 v[25:26], v[100:101], v[60:61], v[5:6]
	v_mul_f64 v[5:6], v[102:103], v[60:61]
	v_fma_f64 v[27:28], v[100:101], v[62:63], -v[5:6]
	ds_read_b128 v[5:8], v255 offset:2880
	ds_read_b128 v[9:12], v255 offset:3360
	s_waitcnt lgkmcnt(1)
	v_mul_f64 v[13:14], v[98:99], v[7:8]
	v_fma_f64 v[29:30], v[96:97], v[5:6], v[13:14]
	v_mul_f64 v[5:6], v[98:99], v[5:6]
	v_fma_f64 v[31:32], v[96:97], v[7:8], -v[5:6]
	ds_read_b128 v[5:8], v255 offset:4320
	ds_read_b128 v[13:16], v255 offset:3840
	s_waitcnt lgkmcnt(1)
	v_mul_f64 v[17:18], v[118:119], v[7:8]
	v_fma_f64 v[34:35], v[116:117], v[5:6], v[17:18]
	v_mul_f64 v[5:6], v[118:119], v[5:6]
	v_fma_f64 v[60:61], v[116:117], v[7:8], -v[5:6]
	ds_read_b128 v[5:8], v255 offset:5760
	ds_read_b128 v[17:20], v255 offset:6240
	s_waitcnt lgkmcnt(1)
	v_mul_f64 v[21:22], v[114:115], v[7:8]
	v_add_f64 v[78:79], v[31:32], -v[60:61]
	v_fma_f64 v[62:63], v[112:113], v[5:6], v[21:22]
	v_mul_f64 v[5:6], v[114:115], v[5:6]
	v_fma_f64 v[64:65], v[112:113], v[7:8], -v[5:6]
	ds_read_b128 v[5:8], v255 offset:1920
	ds_read_b128 v[21:24], v255 offset:2400
	s_waitcnt lgkmcnt(1)
	v_mul_f64 v[66:67], v[54:55], v[7:8]
	v_fma_f64 v[66:67], v[52:53], v[5:6], v[66:67]
	v_mul_f64 v[5:6], v[54:55], v[5:6]
	v_fma_f64 v[52:53], v[52:53], v[7:8], -v[5:6]
	v_mul_f64 v[5:6], v[50:51], v[11:12]
	v_fma_f64 v[54:55], v[48:49], v[9:10], v[5:6]
	v_mul_f64 v[5:6], v[50:51], v[9:10]
	v_fma_f64 v[48:49], v[48:49], v[11:12], -v[5:6]
	ds_read_b128 v[5:8], v255 offset:4800
	ds_read_b128 v[9:12], v255 offset:5280
	s_waitcnt lgkmcnt(1)
	v_mul_f64 v[50:51], v[46:47], v[7:8]
	v_fma_f64 v[50:51], v[44:45], v[5:6], v[50:51]
	v_mul_f64 v[5:6], v[46:47], v[5:6]
	v_fma_f64 v[44:45], v[44:45], v[7:8], -v[5:6]
	v_mul_f64 v[5:6], v[42:43], v[19:20]
	v_fma_f64 v[46:47], v[40:41], v[17:18], v[5:6]
	v_mul_f64 v[5:6], v[42:43], v[17:18]
	v_fma_f64 v[40:41], v[40:41], v[19:20], -v[5:6]
	v_mul_f64 v[5:6], v[58:59], v[23:24]
	v_fma_f64 v[42:43], v[56:57], v[21:22], v[5:6]
	v_mul_f64 v[5:6], v[58:59], v[21:22]
	v_fma_f64 v[56:57], v[56:57], v[23:24], -v[5:6]
	v_mul_f64 v[5:6], v[86:87], v[15:16]
	v_fma_f64 v[58:59], v[84:85], v[13:14], v[5:6]
	v_mul_f64 v[5:6], v[86:87], v[13:14]
	v_add_f64 v[13:14], v[25:26], v[62:63]
	v_add_f64 v[86:87], v[29:30], -v[34:35]
	v_fma_f64 v[68:69], v[84:85], v[15:16], -v[5:6]
	s_waitcnt lgkmcnt(0)
	v_mul_f64 v[5:6], v[94:95], v[11:12]
	v_add_f64 v[84:85], v[27:28], -v[64:65]
	v_fma_f64 v[70:71], v[92:93], v[9:10], v[5:6]
	v_mul_f64 v[5:6], v[94:95], v[9:10]
	v_fma_f64 v[72:73], v[92:93], v[11:12], -v[5:6]
	ds_read_b128 v[5:8], v255 offset:6720
	s_waitcnt lgkmcnt(0)
	v_mul_f64 v[9:10], v[90:91], v[7:8]
	v_fma_f64 v[74:75], v[88:89], v[5:6], v[9:10]
	v_mul_f64 v[5:6], v[90:91], v[5:6]
	v_fma_f64 v[76:77], v[88:89], v[7:8], -v[5:6]
	v_add_f64 v[5:6], v[29:30], -v[25:26]
	v_add_f64 v[7:8], v[34:35], -v[62:63]
	;; [unrolled: 1-line block ×3, first 2 shown]
	v_add_f64 v[17:18], v[5:6], v[7:8]
	v_add_f64 v[5:6], v[31:32], -v[27:28]
	v_add_f64 v[7:8], v[60:61], -v[64:65]
	v_add_f64 v[19:20], v[5:6], v[7:8]
	ds_read_b128 v[5:8], v255
	ds_read_b128 v[9:12], v255 offset:480
	s_waitcnt lgkmcnt(0)
	s_barrier
	buffer_gl0_inv
	v_fma_f64 v[21:22], v[13:14], -0.5, v[5:6]
	v_add_f64 v[13:14], v[27:28], v[64:65]
	v_fma_f64 v[23:24], v[13:14], -0.5, v[7:8]
	v_fma_f64 v[13:14], v[78:79], s[4:5], v[21:22]
	v_fma_f64 v[21:22], v[78:79], s[0:1], v[21:22]
	;; [unrolled: 1-line block ×10, first 2 shown]
	v_add_f64 v[21:22], v[29:30], v[34:35]
	v_fma_f64 v[15:16], v[19:20], s[14:15], v[15:16]
	v_fma_f64 v[19:20], v[19:20], s[14:15], v[23:24]
	v_add_f64 v[23:24], v[31:32], v[60:61]
	v_fma_f64 v[21:22], v[21:22], -0.5, v[5:6]
	v_add_f64 v[5:6], v[5:6], v[25:26]
	v_add_f64 v[25:26], v[25:26], -v[29:30]
	v_fma_f64 v[23:24], v[23:24], -0.5, v[7:8]
	v_add_f64 v[7:8], v[7:8], v[27:28]
	v_add_f64 v[27:28], v[27:28], -v[31:32]
	v_add_f64 v[5:6], v[5:6], v[29:30]
	v_add_f64 v[29:30], v[62:63], -v[34:35]
	;; [unrolled: 2-line block ×3, first 2 shown]
	v_add_f64 v[5:6], v[5:6], v[34:35]
	v_fma_f64 v[34:35], v[84:85], s[0:1], v[21:22]
	v_fma_f64 v[21:22], v[84:85], s[4:5], v[21:22]
	v_add_f64 v[25:26], v[25:26], v[29:30]
	v_add_f64 v[7:8], v[7:8], v[60:61]
	v_fma_f64 v[60:61], v[88:89], s[4:5], v[23:24]
	v_fma_f64 v[23:24], v[88:89], s[0:1], v[23:24]
	v_add_f64 v[27:28], v[27:28], v[31:32]
	v_fma_f64 v[29:30], v[78:79], s[6:7], v[34:35]
	v_fma_f64 v[31:32], v[78:79], s[12:13], v[21:22]
	v_add_f64 v[5:6], v[5:6], v[62:63]
	v_add_f64 v[7:8], v[7:8], v[64:65]
	v_fma_f64 v[34:35], v[86:87], s[12:13], v[60:61]
	v_fma_f64 v[60:61], v[86:87], s[6:7], v[23:24]
	;; [unrolled: 1-line block ×4, first 2 shown]
	v_add_f64 v[29:30], v[66:67], -v[54:55]
	v_add_f64 v[31:32], v[52:53], -v[48:49]
	v_fma_f64 v[23:24], v[27:28], s[14:15], v[34:35]
	v_fma_f64 v[27:28], v[27:28], s[14:15], v[60:61]
	ds_write_b128 v0, v[5:8]
	ds_write_b128 v0, v[21:24] offset:160
	ds_write_b128 v0, v[13:16] offset:320
	ds_write_b128 v0, v[17:20] offset:480
	ds_write_b128 v0, v[25:28] offset:640
	v_add_f64 v[5:6], v[54:55], -v[66:67]
	v_add_f64 v[7:8], v[50:51], -v[46:47]
	;; [unrolled: 1-line block ×6, first 2 shown]
	v_add_f64 v[13:14], v[5:6], v[7:8]
	v_add_f64 v[5:6], v[48:49], -v[52:53]
	v_add_f64 v[7:8], v[44:45], -v[40:41]
	v_add_f64 v[15:16], v[5:6], v[7:8]
	v_add_f64 v[5:6], v[66:67], v[46:47]
	v_fma_f64 v[17:18], v[5:6], -0.5, v[9:10]
	v_add_f64 v[5:6], v[52:53], v[40:41]
	v_fma_f64 v[19:20], v[5:6], -0.5, v[11:12]
	v_fma_f64 v[5:6], v[21:22], s[4:5], v[17:18]
	v_fma_f64 v[17:18], v[21:22], s[0:1], v[17:18]
	;; [unrolled: 1-line block ×10, first 2 shown]
	v_add_f64 v[17:18], v[54:55], v[50:51]
	v_fma_f64 v[7:8], v[15:16], s[14:15], v[7:8]
	v_fma_f64 v[15:16], v[15:16], s[14:15], v[19:20]
	v_add_f64 v[19:20], v[48:49], v[44:45]
	v_fma_f64 v[17:18], v[17:18], -0.5, v[9:10]
	v_add_f64 v[9:10], v[9:10], v[66:67]
	v_fma_f64 v[19:20], v[19:20], -0.5, v[11:12]
	v_add_f64 v[11:12], v[11:12], v[52:53]
	v_fma_f64 v[34:35], v[23:24], s[0:1], v[17:18]
	v_add_f64 v[9:10], v[9:10], v[54:55]
	v_fma_f64 v[17:18], v[23:24], s[4:5], v[17:18]
	v_add_f64 v[23:24], v[46:47], -v[50:51]
	v_add_f64 v[11:12], v[11:12], v[48:49]
	v_add_f64 v[9:10], v[9:10], v[50:51]
	;; [unrolled: 1-line block ×6, first 2 shown]
	v_add_f64 v[40:41], v[40:41], -v[44:45]
	v_fma_f64 v[44:45], v[27:28], s[4:5], v[19:20]
	v_fma_f64 v[19:20], v[27:28], s[0:1], v[19:20]
	v_fma_f64 v[27:28], v[21:22], s[6:7], v[34:35]
	v_fma_f64 v[21:22], v[21:22], s[12:13], v[17:18]
	v_add_f64 v[29:30], v[31:32], v[40:41]
	v_fma_f64 v[31:32], v[25:26], s[12:13], v[44:45]
	v_fma_f64 v[25:26], v[25:26], s[6:7], v[19:20]
	v_fma_f64 v[17:18], v[23:24], s[14:15], v[27:28]
	v_fma_f64 v[21:22], v[23:24], s[14:15], v[21:22]
	v_fma_f64 v[19:20], v[29:30], s[14:15], v[31:32]
	v_fma_f64 v[23:24], v[29:30], s[14:15], v[25:26]
	ds_write_b128 v251, v[9:12]
	ds_write_b128 v251, v[17:20] offset:160
	ds_write_b128 v251, v[5:8] offset:320
	ds_write_b128 v251, v[13:16] offset:480
	ds_write_b128 v251, v[21:24] offset:640
	v_add_f64 v[5:6], v[58:59], -v[42:43]
	v_add_f64 v[7:8], v[70:71], -v[74:75]
	;; [unrolled: 1-line block ×9, first 2 shown]
	v_add_f64 v[9:10], v[5:6], v[7:8]
	v_add_f64 v[5:6], v[68:69], -v[56:57]
	v_add_f64 v[7:8], v[72:73], -v[76:77]
	v_add_f64 v[11:12], v[5:6], v[7:8]
	v_add_f64 v[5:6], v[42:43], v[74:75]
	v_fma_f64 v[13:14], v[5:6], -0.5, v[1:2]
	v_add_f64 v[5:6], v[56:57], v[76:77]
	v_fma_f64 v[15:16], v[5:6], -0.5, v[3:4]
	v_fma_f64 v[5:6], v[17:18], s[4:5], v[13:14]
	v_fma_f64 v[13:14], v[17:18], s[0:1], v[13:14]
	;; [unrolled: 1-line block ×10, first 2 shown]
	v_add_f64 v[13:14], v[58:59], v[70:71]
	v_fma_f64 v[7:8], v[11:12], s[14:15], v[7:8]
	v_fma_f64 v[11:12], v[11:12], s[14:15], v[15:16]
	v_add_f64 v[15:16], v[68:69], v[72:73]
	v_fma_f64 v[13:14], v[13:14], -0.5, v[1:2]
	v_add_f64 v[0:1], v[1:2], v[42:43]
	v_fma_f64 v[15:16], v[15:16], -0.5, v[3:4]
	v_add_f64 v[2:3], v[3:4], v[56:57]
	v_fma_f64 v[27:28], v[19:20], s[0:1], v[13:14]
	v_add_f64 v[0:1], v[0:1], v[58:59]
	v_fma_f64 v[13:14], v[19:20], s[4:5], v[13:14]
	v_add_f64 v[19:20], v[56:57], -v[68:69]
	v_fma_f64 v[34:35], v[23:24], s[4:5], v[15:16]
	v_add_f64 v[2:3], v[2:3], v[68:69]
	v_fma_f64 v[15:16], v[23:24], s[0:1], v[15:16]
	v_add_f64 v[0:1], v[0:1], v[70:71]
	v_add_f64 v[23:24], v[25:26], v[29:30]
	v_fma_f64 v[25:26], v[17:18], s[6:7], v[27:28]
	v_add_f64 v[19:20], v[19:20], v[31:32]
	v_fma_f64 v[17:18], v[17:18], s[12:13], v[13:14]
	s_mov_b32 s0, 0xe8584caa
	s_mov_b32 s1, 0xbfebb67a
	;; [unrolled: 1-line block ×4, first 2 shown]
	v_fma_f64 v[27:28], v[21:22], s[12:13], v[34:35]
	v_add_f64 v[2:3], v[2:3], v[72:73]
	v_fma_f64 v[21:22], v[21:22], s[6:7], v[15:16]
	v_add_f64 v[0:1], v[0:1], v[74:75]
	v_fma_f64 v[13:14], v[23:24], s[14:15], v[25:26]
	v_fma_f64 v[17:18], v[23:24], s[14:15], v[17:18]
	;; [unrolled: 1-line block ×3, first 2 shown]
	v_add_f64 v[2:3], v[2:3], v[76:77]
	v_fma_f64 v[19:20], v[19:20], s[14:15], v[21:22]
	ds_write_b128 v250, v[0:3]
	ds_write_b128 v250, v[13:16] offset:160
	ds_write_b128 v250, v[5:8] offset:320
	ds_write_b128 v250, v[9:12] offset:480
	ds_write_b128 v250, v[17:20] offset:640
	s_waitcnt lgkmcnt(0)
	s_barrier
	buffer_gl0_inv
	ds_read_b128 v[0:3], v255 offset:2400
	ds_read_b128 v[4:7], v255 offset:1920
	s_waitcnt lgkmcnt(1)
	v_mul_f64 v[8:9], v[82:83], v[2:3]
	v_fma_f64 v[16:17], v[80:81], v[0:1], v[8:9]
	v_mul_f64 v[0:1], v[82:83], v[0:1]
	v_fma_f64 v[18:19], v[80:81], v[2:3], -v[0:1]
	ds_read_b128 v[0:3], v255 offset:4800
	ds_read_b128 v[8:11], v255 offset:5280
	s_waitcnt lgkmcnt(1)
	v_mul_f64 v[12:13], v[122:123], v[2:3]
	v_fma_f64 v[20:21], v[120:121], v[0:1], v[12:13]
	v_mul_f64 v[0:1], v[122:123], v[0:1]
	v_fma_f64 v[22:23], v[120:121], v[2:3], -v[0:1]
	;; [unrolled: 7-line block ×3, first 2 shown]
	v_mul_f64 v[0:1], v[158:159], v[10:11]
	v_fma_f64 v[28:29], v[156:157], v[8:9], v[0:1]
	v_mul_f64 v[0:1], v[158:159], v[8:9]
	v_fma_f64 v[30:31], v[156:157], v[10:11], -v[0:1]
	s_waitcnt lgkmcnt(0)
	v_mul_f64 v[0:1], v[170:171], v[14:15]
	v_fma_f64 v[34:35], v[168:169], v[12:13], v[0:1]
	v_mul_f64 v[0:1], v[170:171], v[12:13]
	v_fma_f64 v[48:49], v[168:169], v[14:15], -v[0:1]
	ds_read_b128 v[0:3], v255 offset:5760
	ds_read_b128 v[8:11], v255 offset:6240
	s_waitcnt lgkmcnt(1)
	v_mul_f64 v[12:13], v[162:163], v[2:3]
	v_fma_f64 v[50:51], v[160:161], v[0:1], v[12:13]
	v_mul_f64 v[0:1], v[162:163], v[0:1]
	v_fma_f64 v[52:53], v[160:161], v[2:3], -v[0:1]
	ds_read_b128 v[0:3], v255 offset:3840
	ds_read_b128 v[12:15], v255 offset:4320
	s_waitcnt lgkmcnt(1)
	v_mul_f64 v[40:41], v[178:179], v[2:3]
	v_fma_f64 v[54:55], v[176:177], v[0:1], v[40:41]
	v_mul_f64 v[0:1], v[178:179], v[0:1]
	v_fma_f64 v[56:57], v[176:177], v[2:3], -v[0:1]
	v_mul_f64 v[0:1], v[174:175], v[10:11]
	v_fma_f64 v[58:59], v[172:173], v[8:9], v[0:1]
	v_mul_f64 v[0:1], v[174:175], v[8:9]
	v_fma_f64 v[60:61], v[172:173], v[10:11], -v[0:1]
	s_waitcnt lgkmcnt(0)
	v_mul_f64 v[0:1], v[186:187], v[14:15]
	v_fma_f64 v[62:63], v[184:185], v[12:13], v[0:1]
	v_mul_f64 v[0:1], v[186:187], v[12:13]
	v_add_f64 v[12:13], v[16:17], v[20:21]
	v_fma_f64 v[64:65], v[184:185], v[14:15], -v[0:1]
	ds_read_b128 v[0:3], v255 offset:6720
	s_waitcnt lgkmcnt(0)
	v_mul_f64 v[8:9], v[182:183], v[2:3]
	v_fma_f64 v[66:67], v[180:181], v[0:1], v[8:9]
	v_mul_f64 v[0:1], v[182:183], v[0:1]
	v_fma_f64 v[68:69], v[180:181], v[2:3], -v[0:1]
	ds_read_b128 v[0:3], v255
	ds_read_b128 v[8:11], v255 offset:480
	s_waitcnt lgkmcnt(1)
	v_fma_f64 v[14:15], v[12:13], -0.5, v[0:1]
	v_add_f64 v[12:13], v[18:19], v[22:23]
	v_add_f64 v[0:1], v[0:1], v[16:17]
	v_fma_f64 v[40:41], v[12:13], -0.5, v[2:3]
	v_add_f64 v[2:3], v[2:3], v[18:19]
	v_add_f64 v[18:19], v[18:19], -v[22:23]
	v_add_f64 v[0:1], v[0:1], v[20:21]
	v_add_f64 v[20:21], v[16:17], -v[20:21]
	v_add_f64 v[2:3], v[2:3], v[22:23]
	v_fma_f64 v[12:13], v[18:19], s[0:1], v[14:15]
	v_fma_f64 v[16:17], v[18:19], s[4:5], v[14:15]
	;; [unrolled: 1-line block ×4, first 2 shown]
	v_add_f64 v[20:21], v[24:25], v[28:29]
	s_waitcnt lgkmcnt(0)
	v_fma_f64 v[22:23], v[20:21], -0.5, v[8:9]
	v_add_f64 v[20:21], v[26:27], v[30:31]
	v_add_f64 v[8:9], v[8:9], v[24:25]
	v_fma_f64 v[40:41], v[20:21], -0.5, v[10:11]
	v_add_f64 v[10:11], v[10:11], v[26:27]
	v_add_f64 v[26:27], v[26:27], -v[30:31]
	v_add_f64 v[8:9], v[8:9], v[28:29]
	v_add_f64 v[28:29], v[24:25], -v[28:29]
	v_add_f64 v[10:11], v[10:11], v[30:31]
	v_fma_f64 v[20:21], v[26:27], s[0:1], v[22:23]
	v_fma_f64 v[24:25], v[26:27], s[4:5], v[22:23]
	;; [unrolled: 1-line block ×4, first 2 shown]
	ds_read_b128 v[40:43], v255 offset:960
	ds_read_b128 v[44:47], v255 offset:1440
	s_waitcnt lgkmcnt(0)
	s_barrier
	buffer_gl0_inv
	ds_write_b128 v255, v[0:3]
	ds_write_b128 v255, v[12:15] offset:800
	ds_write_b128 v255, v[16:19] offset:1600
	ds_write_b128 v33, v[8:11]
	ds_write_b128 v33, v[20:23] offset:800
	ds_write_b128 v33, v[24:27] offset:1600
	v_add_f64 v[0:1], v[34:35], v[50:51]
	v_add_f64 v[12:13], v[48:49], -v[52:53]
	v_add_f64 v[8:9], v[40:41], v[34:35]
	v_add_f64 v[16:17], v[34:35], -v[50:51]
	;; [unrolled: 2-line block ×3, first 2 shown]
	v_add_f64 v[28:29], v[54:55], -v[58:59]
	v_fma_f64 v[10:11], v[0:1], -0.5, v[40:41]
	v_add_f64 v[0:1], v[48:49], v[52:53]
	v_fma_f64 v[14:15], v[0:1], -0.5, v[42:43]
	v_add_f64 v[0:1], v[42:43], v[48:49]
	v_add_f64 v[2:3], v[0:1], v[52:53]
	;; [unrolled: 1-line block ×3, first 2 shown]
	v_fma_f64 v[8:9], v[12:13], s[0:1], v[10:11]
	v_fma_f64 v[12:13], v[12:13], s[4:5], v[10:11]
	;; [unrolled: 1-line block ×4, first 2 shown]
	ds_write_b128 v255, v[0:3] offset:2560
	ds_write_b128 v255, v[8:11] offset:3360
	;; [unrolled: 1-line block ×3, first 2 shown]
	buffer_load_dword v0, off, s[24:27], 0 offset:180 ; 4-byte Folded Reload
	v_add_f64 v[16:17], v[54:55], v[58:59]
	v_add_f64 v[12:13], v[62:63], -v[66:67]
	v_fma_f64 v[22:23], v[16:17], -0.5, v[44:45]
	v_add_f64 v[16:17], v[56:57], v[60:61]
	v_fma_f64 v[26:27], v[16:17], -0.5, v[46:47]
	v_add_f64 v[16:17], v[46:47], v[56:57]
	v_add_f64 v[18:19], v[16:17], v[60:61]
	;; [unrolled: 1-line block ×3, first 2 shown]
	v_fma_f64 v[20:21], v[24:25], s[0:1], v[22:23]
	v_fma_f64 v[24:25], v[24:25], s[4:5], v[22:23]
	;; [unrolled: 1-line block ×4, first 2 shown]
	s_waitcnt vmcnt(0)
	ds_write_b128 v0, v[16:19]
	ds_write_b128 v0, v[20:23] offset:800
	ds_write_b128 v0, v[24:27] offset:1600
	v_add_f64 v[0:1], v[62:63], v[66:67]
	v_fma_f64 v[8:9], v[0:1], -0.5, v[4:5]
	v_add_f64 v[0:1], v[64:65], v[68:69]
	v_add_f64 v[4:5], v[4:5], v[62:63]
	v_fma_f64 v[10:11], v[0:1], -0.5, v[6:7]
	v_add_f64 v[0:1], v[6:7], v[64:65]
	v_add_f64 v[6:7], v[64:65], -v[68:69]
	v_add_f64 v[2:3], v[0:1], v[68:69]
	v_add_f64 v[0:1], v[4:5], v[66:67]
	v_fma_f64 v[4:5], v[6:7], s[0:1], v[8:9]
	v_fma_f64 v[8:9], v[6:7], s[4:5], v[8:9]
	;; [unrolled: 1-line block ×4, first 2 shown]
	buffer_load_dword v12, off, s[24:27], 0 offset:176 ; 4-byte Folded Reload
	s_waitcnt vmcnt(0)
	ds_write_b128 v12, v[0:3] offset:4800
	ds_write_b128 v12, v[4:7] offset:5600
	;; [unrolled: 1-line block ×3, first 2 shown]
	s_waitcnt lgkmcnt(0)
	s_barrier
	buffer_gl0_inv
	ds_read_b128 v[0:3], v255 offset:2400
	ds_read_b128 v[4:7], v255 offset:1920
	s_waitcnt lgkmcnt(1)
	v_mul_f64 v[8:9], v[110:111], v[2:3]
	v_fma_f64 v[16:17], v[108:109], v[0:1], v[8:9]
	v_mul_f64 v[0:1], v[110:111], v[0:1]
	v_fma_f64 v[18:19], v[108:109], v[2:3], -v[0:1]
	ds_read_b128 v[0:3], v255 offset:4800
	ds_read_b128 v[8:11], v255 offset:5280
	s_waitcnt lgkmcnt(1)
	v_mul_f64 v[12:13], v[106:107], v[2:3]
	v_fma_f64 v[20:21], v[104:105], v[0:1], v[12:13]
	v_mul_f64 v[0:1], v[106:107], v[0:1]
	v_fma_f64 v[22:23], v[104:105], v[2:3], -v[0:1]
	ds_read_b128 v[0:3], v255 offset:2880
	ds_read_b128 v[12:15], v255 offset:3360
	s_waitcnt lgkmcnt(1)
	v_mul_f64 v[24:25], v[130:131], v[2:3]
	v_fma_f64 v[24:25], v[128:129], v[0:1], v[24:25]
	v_mul_f64 v[0:1], v[130:131], v[0:1]
	v_fma_f64 v[26:27], v[128:129], v[2:3], -v[0:1]
	v_mul_f64 v[0:1], v[126:127], v[10:11]
	v_fma_f64 v[28:29], v[124:125], v[8:9], v[0:1]
	v_mul_f64 v[0:1], v[126:127], v[8:9]
	v_fma_f64 v[30:31], v[124:125], v[10:11], -v[0:1]
	s_waitcnt lgkmcnt(0)
	v_mul_f64 v[0:1], v[138:139], v[14:15]
	v_fma_f64 v[32:33], v[136:137], v[12:13], v[0:1]
	v_mul_f64 v[0:1], v[138:139], v[12:13]
	v_fma_f64 v[34:35], v[136:137], v[14:15], -v[0:1]
	ds_read_b128 v[0:3], v255 offset:5760
	ds_read_b128 v[8:11], v255 offset:6240
	s_waitcnt lgkmcnt(1)
	v_mul_f64 v[12:13], v[134:135], v[2:3]
	v_fma_f64 v[44:45], v[132:133], v[0:1], v[12:13]
	v_mul_f64 v[0:1], v[134:135], v[0:1]
	v_add_f64 v[48:49], v[32:33], v[44:45]
	v_fma_f64 v[46:47], v[132:133], v[2:3], -v[0:1]
	ds_read_b128 v[0:3], v255 offset:3840
	ds_read_b128 v[12:15], v255 offset:4320
	s_waitcnt lgkmcnt(1)
	v_mul_f64 v[40:41], v[146:147], v[2:3]
	v_add_f64 v[50:51], v[34:35], v[46:47]
	v_fma_f64 v[52:53], v[144:145], v[0:1], v[40:41]
	v_mul_f64 v[0:1], v[146:147], v[0:1]
	v_fma_f64 v[54:55], v[144:145], v[2:3], -v[0:1]
	v_mul_f64 v[0:1], v[142:143], v[10:11]
	v_fma_f64 v[56:57], v[140:141], v[8:9], v[0:1]
	v_mul_f64 v[0:1], v[142:143], v[8:9]
	v_fma_f64 v[58:59], v[140:141], v[10:11], -v[0:1]
	s_waitcnt lgkmcnt(0)
	v_mul_f64 v[0:1], v[154:155], v[14:15]
	v_fma_f64 v[60:61], v[152:153], v[12:13], v[0:1]
	v_mul_f64 v[0:1], v[154:155], v[12:13]
	v_add_f64 v[12:13], v[16:17], v[20:21]
	v_fma_f64 v[62:63], v[152:153], v[14:15], -v[0:1]
	ds_read_b128 v[0:3], v255 offset:6720
	s_waitcnt lgkmcnt(0)
	v_mul_f64 v[8:9], v[150:151], v[2:3]
	v_fma_f64 v[64:65], v[148:149], v[0:1], v[8:9]
	v_mul_f64 v[0:1], v[150:151], v[0:1]
	v_fma_f64 v[66:67], v[148:149], v[2:3], -v[0:1]
	ds_read_b128 v[0:3], v255
	ds_read_b128 v[8:11], v255 offset:480
	s_waitcnt lgkmcnt(1)
	v_fma_f64 v[14:15], v[12:13], -0.5, v[0:1]
	v_add_f64 v[12:13], v[18:19], v[22:23]
	v_add_f64 v[0:1], v[0:1], v[16:17]
	v_fma_f64 v[40:41], v[12:13], -0.5, v[2:3]
	v_add_f64 v[2:3], v[2:3], v[18:19]
	v_add_f64 v[18:19], v[18:19], -v[22:23]
	v_add_f64 v[0:1], v[0:1], v[20:21]
	v_add_f64 v[20:21], v[16:17], -v[20:21]
	v_add_f64 v[2:3], v[2:3], v[22:23]
	v_fma_f64 v[12:13], v[18:19], s[0:1], v[14:15]
	v_fma_f64 v[16:17], v[18:19], s[4:5], v[14:15]
	;; [unrolled: 1-line block ×4, first 2 shown]
	v_add_f64 v[20:21], v[24:25], v[28:29]
	s_waitcnt lgkmcnt(0)
	v_fma_f64 v[22:23], v[20:21], -0.5, v[8:9]
	v_add_f64 v[20:21], v[26:27], v[30:31]
	v_add_f64 v[8:9], v[8:9], v[24:25]
	v_fma_f64 v[40:41], v[20:21], -0.5, v[10:11]
	v_add_f64 v[10:11], v[10:11], v[26:27]
	v_add_f64 v[26:27], v[26:27], -v[30:31]
	v_add_f64 v[8:9], v[8:9], v[28:29]
	v_add_f64 v[28:29], v[24:25], -v[28:29]
	v_add_f64 v[10:11], v[10:11], v[30:31]
	v_fma_f64 v[20:21], v[26:27], s[0:1], v[22:23]
	v_fma_f64 v[24:25], v[26:27], s[4:5], v[22:23]
	;; [unrolled: 1-line block ×4, first 2 shown]
	ds_read_b128 v[28:31], v255 offset:960
	ds_read_b128 v[40:43], v255 offset:1440
	s_waitcnt lgkmcnt(1)
	v_fma_f64 v[48:49], v[48:49], -0.5, v[28:29]
	v_fma_f64 v[50:51], v[50:51], -0.5, v[30:31]
	v_add_f64 v[30:31], v[30:31], v[34:35]
	v_add_f64 v[28:29], v[28:29], v[32:33]
	v_add_f64 v[34:35], v[34:35], -v[46:47]
	v_add_f64 v[32:33], v[32:33], -v[44:45]
	v_add_f64 v[30:31], v[30:31], v[46:47]
	v_add_f64 v[28:29], v[28:29], v[44:45]
	v_fma_f64 v[44:45], v[34:35], s[0:1], v[48:49]
	v_fma_f64 v[48:49], v[34:35], s[4:5], v[48:49]
	v_add_f64 v[34:35], v[54:55], v[58:59]
	v_fma_f64 v[46:47], v[32:33], s[4:5], v[50:51]
	v_fma_f64 v[50:51], v[32:33], s[0:1], v[50:51]
	v_add_f64 v[32:33], v[52:53], v[56:57]
	s_waitcnt lgkmcnt(0)
	v_fma_f64 v[34:35], v[34:35], -0.5, v[42:43]
	v_add_f64 v[42:43], v[42:43], v[54:55]
	v_add_f64 v[54:55], v[54:55], -v[58:59]
	v_fma_f64 v[32:33], v[32:33], -0.5, v[40:41]
	v_add_f64 v[40:41], v[40:41], v[52:53]
	v_add_f64 v[42:43], v[42:43], v[58:59]
	v_add_f64 v[58:59], v[52:53], -v[56:57]
	v_fma_f64 v[52:53], v[54:55], s[0:1], v[32:33]
	v_add_f64 v[40:41], v[40:41], v[56:57]
	v_fma_f64 v[56:57], v[54:55], s[4:5], v[32:33]
	v_add_f64 v[32:33], v[60:61], v[64:65]
	v_fma_f64 v[54:55], v[58:59], s[4:5], v[34:35]
	v_fma_f64 v[58:59], v[58:59], s[0:1], v[34:35]
	v_add_f64 v[34:35], v[62:63], v[66:67]
	v_fma_f64 v[32:33], v[32:33], -0.5, v[4:5]
	v_add_f64 v[4:5], v[4:5], v[60:61]
	v_fma_f64 v[34:35], v[34:35], -0.5, v[6:7]
	v_add_f64 v[6:7], v[6:7], v[62:63]
	v_add_f64 v[62:63], v[62:63], -v[66:67]
	v_add_f64 v[4:5], v[4:5], v[64:65]
	v_add_f64 v[6:7], v[6:7], v[66:67]
	v_add_f64 v[66:67], v[60:61], -v[64:65]
	v_fma_f64 v[60:61], v[62:63], s[0:1], v[32:33]
	v_fma_f64 v[64:65], v[62:63], s[4:5], v[32:33]
	;; [unrolled: 1-line block ×4, first 2 shown]
	ds_write_b128 v255, v[0:3]
	ds_write_b128 v252, v[12:15] offset:2400
	ds_write_b128 v252, v[16:19] offset:4800
	;; [unrolled: 1-line block ×14, first 2 shown]
	s_waitcnt lgkmcnt(0)
	s_barrier
	buffer_gl0_inv
	ds_read_b128 v[0:3], v255
	ds_read_b128 v[4:7], v255 offset:720
	s_clause 0x3
	buffer_load_dword v30, off, s[24:27], 0 offset:48
	buffer_load_dword v31, off, s[24:27], 0 offset:52
	;; [unrolled: 1-line block ×4, first 2 shown]
	ds_read_b128 v[8:11], v255 offset:1440
	s_clause 0x5
	buffer_load_dword v40, off, s[24:27], 0 offset:64
	buffer_load_dword v41, off, s[24:27], 0 offset:68
	;; [unrolled: 1-line block ×6, first 2 shown]
	v_mad_u64_u32 v[26:27], null, s8, v254, 0
	s_mov_b32 s4, 0x789abcdf
	s_mov_b32 s5, 0x3f623456
	s_mul_hi_u32 s1, s8, 45
	s_waitcnt vmcnt(6) lgkmcnt(2)
	v_mul_f64 v[12:13], v[32:33], v[2:3]
	v_mul_f64 v[16:17], v[32:33], v[0:1]
	s_waitcnt vmcnt(2) lgkmcnt(1)
	v_mul_f64 v[18:19], v[42:43], v[6:7]
	v_mul_f64 v[20:21], v[42:43], v[4:5]
	s_waitcnt vmcnt(1)
	v_mov_b32_e32 v32, v14
	v_mad_u64_u32 v[22:23], null, s10, v32, 0
	v_fma_f64 v[24:25], v[30:31], v[0:1], v[12:13]
	s_waitcnt vmcnt(0)
	ds_read_b128 v[12:15], v255 offset:2160
	s_clause 0x3
	buffer_load_dword v42, off, s[24:27], 0 offset:24
	buffer_load_dword v43, off, s[24:27], 0 offset:28
	;; [unrolled: 1-line block ×4, first 2 shown]
	v_mov_b32_e32 v0, v23
	v_mov_b32_e32 v23, v27
	v_fma_f64 v[16:17], v[30:31], v[2:3], -v[16:17]
	v_mad_u64_u32 v[32:33], null, s11, v32, v[0:1]
	ds_read_b128 v[0:3], v255 offset:2880
	v_mad_u64_u32 v[33:34], null, s9, v254, v[23:24]
	v_fma_f64 v[34:35], v[40:41], v[4:5], v[18:19]
	v_fma_f64 v[40:41], v[40:41], v[6:7], -v[20:21]
	ds_read_b128 v[4:7], v255 offset:3600
	s_clause 0x3
	buffer_load_dword v58, off, s[24:27], 0 offset:160
	buffer_load_dword v59, off, s[24:27], 0 offset:164
	;; [unrolled: 1-line block ×4, first 2 shown]
	s_waitcnt lgkmcnt(2)
	v_mul_f64 v[18:19], v[38:39], v[14:15]
	v_mul_f64 v[20:21], v[38:39], v[12:13]
	s_clause 0x3
	buffer_load_dword v54, off, s[24:27], 0 offset:144
	buffer_load_dword v55, off, s[24:27], 0 offset:148
	;; [unrolled: 1-line block ×4, first 2 shown]
	v_mov_b32_e32 v23, v32
	v_mov_b32_e32 v27, v33
	v_fma_f64 v[52:53], v[36:37], v[12:13], v[18:19]
	v_fma_f64 v[36:37], v[36:37], v[14:15], -v[20:21]
	v_mul_f64 v[20:21], v[34:35], s[4:5]
	ds_read_b128 v[12:15], v255 offset:5040
	s_waitcnt vmcnt(8)
	v_mul_f64 v[30:31], v[44:45], v[8:9]
	v_mul_f64 v[28:29], v[44:45], v[10:11]
	v_fma_f64 v[38:39], v[42:43], v[10:11], -v[30:31]
	v_lshlrev_b64 v[10:11], 4, v[22:23]
	v_lshlrev_b64 v[22:23], 4, v[26:27]
	v_fma_f64 v[32:33], v[42:43], v[8:9], v[28:29]
	v_mul_f64 v[8:9], v[24:25], s[4:5]
	s_waitcnt vmcnt(4) lgkmcnt(2)
	v_mul_f64 v[42:43], v[60:61], v[2:3]
	v_mul_f64 v[44:45], v[60:61], v[0:1]
	v_add_co_u32 v24, s0, s2, v10
	v_add_co_ci_u32_e64 v25, s0, s3, v11, s0
	v_mul_f64 v[10:11], v[16:17], s[4:5]
	v_add_co_u32 v50, s0, v24, v22
	v_add_co_ci_u32_e64 v51, s0, v25, v23, s0
	ds_read_b128 v[16:19], v255 offset:4320
	ds_read_b128 v[24:27], v255 offset:5760
	;; [unrolled: 1-line block ×3, first 2 shown]
	s_clause 0x7
	buffer_load_dword v60, off, s[24:27], 0 offset:80
	buffer_load_dword v61, off, s[24:27], 0 offset:84
	;; [unrolled: 1-line block ×8, first 2 shown]
	s_waitcnt vmcnt(8) lgkmcnt(4)
	v_mul_f64 v[46:47], v[56:57], v[6:7]
	v_mul_f64 v[48:49], v[56:57], v[4:5]
	;; [unrolled: 1-line block ×3, first 2 shown]
	s_mul_i32 s0, s9, 45
	s_add_i32 s1, s1, s0
	v_fma_f64 v[34:35], v[58:59], v[0:1], v[42:43]
	v_fma_f64 v[40:41], v[58:59], v[2:3], -v[44:45]
	s_mul_i32 s0, s8, 45
	v_mul_f64 v[0:1], v[32:33], s[4:5]
	s_lshl_b64 s[2:3], s[0:1], 4
	v_mul_f64 v[2:3], v[38:39], s[4:5]
	global_store_dwordx4 v[50:51], v[8:11], off
	v_fma_f64 v[42:43], v[54:55], v[4:5], v[46:47]
	v_fma_f64 v[44:45], v[54:55], v[6:7], -v[48:49]
	v_add_co_u32 v4, s0, v50, s2
	v_add_co_ci_u32_e64 v5, s0, s3, v51, s0
	v_mul_f64 v[6:7], v[36:37], s[4:5]
	v_add_co_u32 v32, s0, v4, s2
	v_add_co_ci_u32_e64 v33, s0, s3, v5, s0
	v_add_co_u32 v36, s0, v32, s2
	v_add_co_ci_u32_e64 v37, s0, s3, v33, s0
	s_waitcnt vmcnt(4) lgkmcnt(2)
	v_mul_f64 v[46:47], v[62:63], v[18:19]
	v_mul_f64 v[48:49], v[62:63], v[16:17]
	s_clause 0x3
	buffer_load_dword v62, off, s[24:27], 0 offset:96
	buffer_load_dword v63, off, s[24:27], 0 offset:100
	;; [unrolled: 1-line block ×4, first 2 shown]
	s_waitcnt vmcnt(4)
	v_mul_f64 v[54:55], v[68:69], v[14:15]
	v_mul_f64 v[8:9], v[68:69], v[12:13]
	s_clause 0x3
	buffer_load_dword v68, off, s[24:27], 0 offset:128
	buffer_load_dword v69, off, s[24:27], 0 offset:132
	;; [unrolled: 1-line block ×4, first 2 shown]
	global_store_dwordx4 v[4:5], v[20:23], off
	v_mul_f64 v[4:5], v[52:53], s[4:5]
	global_store_dwordx4 v[32:33], v[0:3], off
	v_fma_f64 v[16:17], v[60:61], v[16:17], v[46:47]
	v_fma_f64 v[18:19], v[60:61], v[18:19], -v[48:49]
	v_fma_f64 v[20:21], v[66:67], v[12:13], v[54:55]
	v_fma_f64 v[22:23], v[66:67], v[14:15], -v[8:9]
	v_mul_f64 v[8:9], v[34:35], s[4:5]
	v_add_co_u32 v34, s0, v36, s2
	v_add_co_ci_u32_e64 v35, s0, s3, v37, s0
	v_mul_f64 v[12:13], v[42:43], s[4:5]
	v_add_co_u32 v38, s0, v34, s2
	v_add_co_ci_u32_e64 v39, s0, s3, v35, s0
	v_mul_f64 v[14:15], v[44:45], s[4:5]
	global_store_dwordx4 v[36:37], v[4:7], off
	v_mul_f64 v[16:17], v[16:17], s[4:5]
	v_mul_f64 v[18:19], v[18:19], s[4:5]
	;; [unrolled: 1-line block ×4, first 2 shown]
	s_waitcnt vmcnt(4) lgkmcnt(1)
	v_mul_f64 v[10:11], v[64:65], v[26:27]
	v_mul_f64 v[50:51], v[64:65], v[24:25]
	s_waitcnt vmcnt(0) lgkmcnt(0)
	v_mul_f64 v[56:57], v[70:71], v[30:31]
	v_mul_f64 v[58:59], v[70:71], v[28:29]
	v_fma_f64 v[24:25], v[62:63], v[24:25], v[10:11]
	v_fma_f64 v[26:27], v[62:63], v[26:27], -v[50:51]
	v_mul_f64 v[10:11], v[40:41], s[4:5]
	v_fma_f64 v[28:29], v[68:69], v[28:29], v[56:57]
	v_fma_f64 v[30:31], v[68:69], v[30:31], -v[58:59]
	v_add_co_u32 v40, s0, v38, s2
	v_add_co_ci_u32_e64 v41, s0, s3, v39, s0
	v_add_co_u32 v2, s0, v40, s2
	v_add_co_ci_u32_e64 v3, s0, s3, v41, s0
	;; [unrolled: 2-line block ×3, first 2 shown]
	v_add_co_u32 v0, s0, v4, s2
	v_mul_f64 v[24:25], v[24:25], s[4:5]
	v_mul_f64 v[26:27], v[26:27], s[4:5]
	v_add_co_ci_u32_e64 v1, s0, s3, v5, s0
	v_mul_f64 v[28:29], v[28:29], s[4:5]
	v_mul_f64 v[30:31], v[30:31], s[4:5]
	global_store_dwordx4 v[34:35], v[8:11], off
	global_store_dwordx4 v[38:39], v[12:15], off
	;; [unrolled: 1-line block ×6, first 2 shown]
	s_and_b32 exec_lo, exec_lo, vcc_lo
	s_cbranch_execz .LBB0_15
; %bb.14:
	global_load_dwordx4 v[2:5], v[248:249], off offset:480
	ds_read_b128 v[6:9], v252 offset:480
	ds_read_b128 v[10:13], v252 offset:1920
	s_mul_i32 s0, s9, 0xffffe890
	s_sub_i32 s0, s0, s8
	s_waitcnt vmcnt(0) lgkmcnt(1)
	v_mul_f64 v[14:15], v[8:9], v[4:5]
	v_mul_f64 v[4:5], v[6:7], v[4:5]
	v_fma_f64 v[6:7], v[6:7], v[2:3], v[14:15]
	v_fma_f64 v[4:5], v[2:3], v[8:9], -v[4:5]
	v_mad_u64_u32 v[8:9], null, 0xffffe890, s8, v[0:1]
	v_add_nc_u32_e32 v9, s0, v9
	v_mul_f64 v[2:3], v[6:7], s[4:5]
	v_mul_f64 v[4:5], v[4:5], s[4:5]
	global_store_dwordx4 v[8:9], v[2:5], off
	global_load_dwordx4 v[0:3], v[248:249], off offset:1200
	ds_read_b128 v[4:7], v255 offset:1200
	ds_read_b128 v[14:17], v255 offset:2640
	s_waitcnt vmcnt(0) lgkmcnt(1)
	v_mul_f64 v[18:19], v[6:7], v[2:3]
	v_mul_f64 v[2:3], v[4:5], v[2:3]
	v_fma_f64 v[4:5], v[4:5], v[0:1], v[18:19]
	v_fma_f64 v[2:3], v[0:1], v[6:7], -v[2:3]
	v_mul_f64 v[0:1], v[4:5], s[4:5]
	v_mul_f64 v[2:3], v[2:3], s[4:5]
	v_add_co_u32 v4, vcc_lo, v8, s2
	v_add_co_ci_u32_e32 v5, vcc_lo, s3, v9, vcc_lo
	global_store_dwordx4 v[4:5], v[0:3], off
	global_load_dwordx4 v[0:3], v[248:249], off offset:1920
	v_add_co_u32 v4, vcc_lo, v4, s2
	v_add_co_ci_u32_e32 v5, vcc_lo, s3, v5, vcc_lo
	s_waitcnt vmcnt(0)
	v_mul_f64 v[6:7], v[12:13], v[2:3]
	v_mul_f64 v[2:3], v[10:11], v[2:3]
	v_fma_f64 v[6:7], v[10:11], v[0:1], v[6:7]
	v_fma_f64 v[2:3], v[0:1], v[12:13], -v[2:3]
	v_add_co_u32 v12, vcc_lo, v4, s2
	v_add_co_ci_u32_e32 v13, vcc_lo, s3, v5, vcc_lo
	v_mul_f64 v[0:1], v[6:7], s[4:5]
	v_mul_f64 v[2:3], v[2:3], s[4:5]
	global_store_dwordx4 v[4:5], v[0:3], off
	s_clause 0x1
	buffer_load_dword v18, off, s[24:27], 0
	buffer_load_dword v19, off, s[24:27], 0 offset:4
	s_waitcnt vmcnt(0)
	global_load_dwordx4 v[0:3], v[18:19], off offset:592
	s_waitcnt vmcnt(0) lgkmcnt(0)
	v_mul_f64 v[6:7], v[16:17], v[2:3]
	v_mul_f64 v[2:3], v[14:15], v[2:3]
	v_fma_f64 v[6:7], v[14:15], v[0:1], v[6:7]
	v_fma_f64 v[2:3], v[0:1], v[16:17], -v[2:3]
	v_mul_f64 v[0:1], v[6:7], s[4:5]
	v_mul_f64 v[2:3], v[2:3], s[4:5]
	global_store_dwordx4 v[12:13], v[0:3], off
	global_load_dwordx4 v[0:3], v[18:19], off offset:1312
	ds_read_b128 v[4:7], v255 offset:3360
	ds_read_b128 v[8:11], v255 offset:4080
	s_waitcnt vmcnt(0) lgkmcnt(1)
	v_mul_f64 v[14:15], v[6:7], v[2:3]
	v_mul_f64 v[2:3], v[4:5], v[2:3]
	v_fma_f64 v[4:5], v[4:5], v[0:1], v[14:15]
	v_fma_f64 v[2:3], v[0:1], v[6:7], -v[2:3]
	v_mul_f64 v[0:1], v[4:5], s[4:5]
	v_mul_f64 v[2:3], v[2:3], s[4:5]
	v_add_co_u32 v4, vcc_lo, v12, s2
	v_add_co_ci_u32_e32 v5, vcc_lo, s3, v13, vcc_lo
	v_add_co_u32 v12, vcc_lo, v4, s2
	v_add_co_ci_u32_e32 v13, vcc_lo, s3, v5, vcc_lo
	global_store_dwordx4 v[4:5], v[0:3], off
	global_load_dwordx4 v[0:3], v[18:19], off offset:2032
	s_waitcnt vmcnt(0) lgkmcnt(0)
	v_mul_f64 v[6:7], v[10:11], v[2:3]
	v_mul_f64 v[2:3], v[8:9], v[2:3]
	v_fma_f64 v[6:7], v[8:9], v[0:1], v[6:7]
	v_fma_f64 v[2:3], v[0:1], v[10:11], -v[2:3]
	v_mul_f64 v[0:1], v[6:7], s[4:5]
	v_mul_f64 v[2:3], v[2:3], s[4:5]
	global_store_dwordx4 v[12:13], v[0:3], off
	s_clause 0x1
	buffer_load_dword v16, off, s[24:27], 0 offset:8
	buffer_load_dword v17, off, s[24:27], 0 offset:12
	s_waitcnt vmcnt(0)
	global_load_dwordx4 v[0:3], v[16:17], off offset:704
	ds_read_b128 v[4:7], v255 offset:4800
	ds_read_b128 v[8:11], v255 offset:5520
	s_waitcnt vmcnt(0) lgkmcnt(1)
	v_mul_f64 v[14:15], v[6:7], v[2:3]
	v_mul_f64 v[2:3], v[4:5], v[2:3]
	v_fma_f64 v[4:5], v[4:5], v[0:1], v[14:15]
	v_fma_f64 v[2:3], v[0:1], v[6:7], -v[2:3]
	v_mul_f64 v[0:1], v[4:5], s[4:5]
	v_mul_f64 v[2:3], v[2:3], s[4:5]
	v_add_co_u32 v4, vcc_lo, v12, s2
	v_add_co_ci_u32_e32 v5, vcc_lo, s3, v13, vcc_lo
	v_add_co_u32 v12, vcc_lo, v4, s2
	v_add_co_ci_u32_e32 v13, vcc_lo, s3, v5, vcc_lo
	global_store_dwordx4 v[4:5], v[0:3], off
	global_load_dwordx4 v[0:3], v[16:17], off offset:1424
	s_waitcnt vmcnt(0) lgkmcnt(0)
	v_mul_f64 v[6:7], v[10:11], v[2:3]
	v_mul_f64 v[2:3], v[8:9], v[2:3]
	v_fma_f64 v[6:7], v[8:9], v[0:1], v[6:7]
	v_fma_f64 v[2:3], v[0:1], v[10:11], -v[2:3]
	v_mul_f64 v[0:1], v[6:7], s[4:5]
	v_mul_f64 v[2:3], v[2:3], s[4:5]
	global_store_dwordx4 v[12:13], v[0:3], off
	s_clause 0x1
	buffer_load_dword v16, off, s[24:27], 0 offset:16
	buffer_load_dword v17, off, s[24:27], 0 offset:20
	s_waitcnt vmcnt(0)
	global_load_dwordx4 v[0:3], v[16:17], off offset:96
	ds_read_b128 v[4:7], v255 offset:6240
	ds_read_b128 v[8:11], v255 offset:6960
	s_waitcnt vmcnt(0) lgkmcnt(1)
	v_mul_f64 v[14:15], v[6:7], v[2:3]
	v_mul_f64 v[2:3], v[4:5], v[2:3]
	v_fma_f64 v[4:5], v[4:5], v[0:1], v[14:15]
	v_fma_f64 v[2:3], v[0:1], v[6:7], -v[2:3]
	v_mul_f64 v[0:1], v[4:5], s[4:5]
	v_mul_f64 v[2:3], v[2:3], s[4:5]
	v_add_co_u32 v4, vcc_lo, v12, s2
	v_add_co_ci_u32_e32 v5, vcc_lo, s3, v13, vcc_lo
	global_store_dwordx4 v[4:5], v[0:3], off
	global_load_dwordx4 v[0:3], v[16:17], off offset:816
	v_add_co_u32 v4, vcc_lo, v4, s2
	v_add_co_ci_u32_e32 v5, vcc_lo, s3, v5, vcc_lo
	s_waitcnt vmcnt(0) lgkmcnt(0)
	v_mul_f64 v[6:7], v[10:11], v[2:3]
	v_mul_f64 v[2:3], v[8:9], v[2:3]
	v_fma_f64 v[6:7], v[8:9], v[0:1], v[6:7]
	v_fma_f64 v[2:3], v[0:1], v[10:11], -v[2:3]
	v_mul_f64 v[0:1], v[6:7], s[4:5]
	v_mul_f64 v[2:3], v[2:3], s[4:5]
	global_store_dwordx4 v[4:5], v[0:3], off
.LBB0_15:
	s_endpgm
	.section	.rodata,"a",@progbits
	.p2align	6, 0x0
	.amdhsa_kernel bluestein_single_fwd_len450_dim1_dp_op_CI_CI
		.amdhsa_group_segment_fixed_size 28800
		.amdhsa_private_segment_fixed_size 196
		.amdhsa_kernarg_size 104
		.amdhsa_user_sgpr_count 6
		.amdhsa_user_sgpr_private_segment_buffer 1
		.amdhsa_user_sgpr_dispatch_ptr 0
		.amdhsa_user_sgpr_queue_ptr 0
		.amdhsa_user_sgpr_kernarg_segment_ptr 1
		.amdhsa_user_sgpr_dispatch_id 0
		.amdhsa_user_sgpr_flat_scratch_init 0
		.amdhsa_user_sgpr_private_segment_size 0
		.amdhsa_wavefront_size32 1
		.amdhsa_uses_dynamic_stack 0
		.amdhsa_system_sgpr_private_segment_wavefront_offset 1
		.amdhsa_system_sgpr_workgroup_id_x 1
		.amdhsa_system_sgpr_workgroup_id_y 0
		.amdhsa_system_sgpr_workgroup_id_z 0
		.amdhsa_system_sgpr_workgroup_info 0
		.amdhsa_system_vgpr_workitem_id 0
		.amdhsa_next_free_vgpr 256
		.amdhsa_next_free_sgpr 28
		.amdhsa_reserve_vcc 1
		.amdhsa_reserve_flat_scratch 0
		.amdhsa_float_round_mode_32 0
		.amdhsa_float_round_mode_16_64 0
		.amdhsa_float_denorm_mode_32 3
		.amdhsa_float_denorm_mode_16_64 3
		.amdhsa_dx10_clamp 1
		.amdhsa_ieee_mode 1
		.amdhsa_fp16_overflow 0
		.amdhsa_workgroup_processor_mode 1
		.amdhsa_memory_ordered 1
		.amdhsa_forward_progress 0
		.amdhsa_shared_vgpr_count 0
		.amdhsa_exception_fp_ieee_invalid_op 0
		.amdhsa_exception_fp_denorm_src 0
		.amdhsa_exception_fp_ieee_div_zero 0
		.amdhsa_exception_fp_ieee_overflow 0
		.amdhsa_exception_fp_ieee_underflow 0
		.amdhsa_exception_fp_ieee_inexact 0
		.amdhsa_exception_int_div_zero 0
	.end_amdhsa_kernel
	.text
.Lfunc_end0:
	.size	bluestein_single_fwd_len450_dim1_dp_op_CI_CI, .Lfunc_end0-bluestein_single_fwd_len450_dim1_dp_op_CI_CI
                                        ; -- End function
	.section	.AMDGPU.csdata,"",@progbits
; Kernel info:
; codeLenInByte = 21924
; NumSgprs: 30
; NumVgprs: 256
; ScratchSize: 196
; MemoryBound: 0
; FloatMode: 240
; IeeeMode: 1
; LDSByteSize: 28800 bytes/workgroup (compile time only)
; SGPRBlocks: 3
; VGPRBlocks: 31
; NumSGPRsForWavesPerEU: 30
; NumVGPRsForWavesPerEU: 256
; Occupancy: 4
; WaveLimiterHint : 1
; COMPUTE_PGM_RSRC2:SCRATCH_EN: 1
; COMPUTE_PGM_RSRC2:USER_SGPR: 6
; COMPUTE_PGM_RSRC2:TRAP_HANDLER: 0
; COMPUTE_PGM_RSRC2:TGID_X_EN: 1
; COMPUTE_PGM_RSRC2:TGID_Y_EN: 0
; COMPUTE_PGM_RSRC2:TGID_Z_EN: 0
; COMPUTE_PGM_RSRC2:TIDIG_COMP_CNT: 0
	.text
	.p2alignl 6, 3214868480
	.fill 48, 4, 3214868480
	.type	__hip_cuid_ce4a5cba96f3e680,@object ; @__hip_cuid_ce4a5cba96f3e680
	.section	.bss,"aw",@nobits
	.globl	__hip_cuid_ce4a5cba96f3e680
__hip_cuid_ce4a5cba96f3e680:
	.byte	0                               ; 0x0
	.size	__hip_cuid_ce4a5cba96f3e680, 1

	.ident	"AMD clang version 19.0.0git (https://github.com/RadeonOpenCompute/llvm-project roc-6.4.0 25133 c7fe45cf4b819c5991fe208aaa96edf142730f1d)"
	.section	".note.GNU-stack","",@progbits
	.addrsig
	.addrsig_sym __hip_cuid_ce4a5cba96f3e680
	.amdgpu_metadata
---
amdhsa.kernels:
  - .args:
      - .actual_access:  read_only
        .address_space:  global
        .offset:         0
        .size:           8
        .value_kind:     global_buffer
      - .actual_access:  read_only
        .address_space:  global
        .offset:         8
        .size:           8
        .value_kind:     global_buffer
      - .actual_access:  read_only
        .address_space:  global
        .offset:         16
        .size:           8
        .value_kind:     global_buffer
      - .actual_access:  read_only
        .address_space:  global
        .offset:         24
        .size:           8
        .value_kind:     global_buffer
      - .actual_access:  read_only
        .address_space:  global
        .offset:         32
        .size:           8
        .value_kind:     global_buffer
      - .offset:         40
        .size:           8
        .value_kind:     by_value
      - .address_space:  global
        .offset:         48
        .size:           8
        .value_kind:     global_buffer
      - .address_space:  global
        .offset:         56
        .size:           8
        .value_kind:     global_buffer
      - .address_space:  global
        .offset:         64
        .size:           8
        .value_kind:     global_buffer
      - .address_space:  global
        .offset:         72
        .size:           8
        .value_kind:     global_buffer
      - .offset:         80
        .size:           4
        .value_kind:     by_value
      - .address_space:  global
        .offset:         88
        .size:           8
        .value_kind:     global_buffer
      - .address_space:  global
        .offset:         96
        .size:           8
        .value_kind:     global_buffer
    .group_segment_fixed_size: 28800
    .kernarg_segment_align: 8
    .kernarg_segment_size: 104
    .language:       OpenCL C
    .language_version:
      - 2
      - 0
    .max_flat_workgroup_size: 120
    .name:           bluestein_single_fwd_len450_dim1_dp_op_CI_CI
    .private_segment_fixed_size: 196
    .sgpr_count:     30
    .sgpr_spill_count: 0
    .symbol:         bluestein_single_fwd_len450_dim1_dp_op_CI_CI.kd
    .uniform_work_group_size: 1
    .uses_dynamic_stack: false
    .vgpr_count:     256
    .vgpr_spill_count: 48
    .wavefront_size: 32
    .workgroup_processor_mode: 1
amdhsa.target:   amdgcn-amd-amdhsa--gfx1030
amdhsa.version:
  - 1
  - 2
...

	.end_amdgpu_metadata
